;; amdgpu-corpus repo=ROCm/rocFFT kind=compiled arch=gfx950 opt=O3
	.text
	.amdgcn_target "amdgcn-amd-amdhsa--gfx950"
	.amdhsa_code_object_version 6
	.protected	bluestein_single_back_len1683_dim1_sp_op_CI_CI ; -- Begin function bluestein_single_back_len1683_dim1_sp_op_CI_CI
	.globl	bluestein_single_back_len1683_dim1_sp_op_CI_CI
	.p2align	8
	.type	bluestein_single_back_len1683_dim1_sp_op_CI_CI,@function
bluestein_single_back_len1683_dim1_sp_op_CI_CI: ; @bluestein_single_back_len1683_dim1_sp_op_CI_CI
; %bb.0:
	s_load_dwordx4 s[8:11], s[0:1], 0x28
	v_mul_u32_u24_e32 v1, 0x506, v0
	v_mov_b32_e32 v101, 0
	v_add_u32_sdwa v6, s2, v1 dst_sel:DWORD dst_unused:UNUSED_PAD src0_sel:DWORD src1_sel:WORD_1
	v_mov_b32_e32 v7, v101
	s_waitcnt lgkmcnt(0)
	v_cmp_gt_u64_e32 vcc, s[8:9], v[6:7]
	s_and_saveexec_b64 s[2:3], vcc
	s_cbranch_execz .LBB0_15
; %bb.1:
	s_load_dwordx4 s[4:7], s[0:1], 0x18
	s_load_dwordx2 s[12:13], s[0:1], 0x0
	v_mov_b32_e32 v2, s10
	v_mov_b32_e32 v3, s11
	;; [unrolled: 1-line block ×3, first 2 shown]
	s_waitcnt lgkmcnt(0)
	s_load_dwordx4 s[8:11], s[4:5], 0x0
	v_mul_lo_u16_sdwa v1, v1, v4 dst_sel:DWORD dst_unused:UNUSED_PAD src0_sel:WORD_1 src1_sel:DWORD
	v_sub_u16_e32 v100, v0, v1
	v_accvgpr_write_b32 a30, v6
	v_lshlrev_b32_e32 v80, 3, v100
	s_waitcnt lgkmcnt(0)
	v_mad_u64_u32 v[0:1], s[2:3], s10, v6, 0
	v_mov_b32_e32 v4, v1
	v_mad_u64_u32 v[4:5], s[2:3], s11, v6, v[4:5]
	v_mov_b32_e32 v1, v4
	v_mad_u64_u32 v[4:5], s[2:3], s8, v100, 0
	v_mov_b32_e32 v6, v5
	v_mad_u64_u32 v[6:7], s[2:3], s9, v100, v[6:7]
	v_mov_b32_e32 v5, v6
	v_lshl_add_u64 v[0:1], v[0:1], 3, v[2:3]
	s_mul_i32 s2, s9, 0x63
	s_mul_hi_u32 s3, s8, 0x63
	v_lshl_add_u64 v[2:3], v[4:5], 3, v[0:1]
	s_add_i32 s3, s3, s2
	s_mul_i32 s2, s8, 0x63
	global_load_dwordx2 v[76:77], v80, s[12:13]
	global_load_dwordx2 v[8:9], v[2:3], off
	s_lshl_b64 s[14:15], s[2:3], 3
	v_lshl_add_u64 v[2:3], v[2:3], 0, s[14:15]
	global_load_dwordx2 v[10:11], v[2:3], off
	global_load_dwordx2 v[74:75], v80, s[12:13] offset:792
	v_lshl_add_u64 v[2:3], v[2:3], 0, s[14:15]
	global_load_dwordx2 v[72:73], v80, s[12:13] offset:1584
	global_load_dwordx2 v[12:13], v[2:3], off
	v_lshl_add_u64 v[2:3], v[2:3], 0, s[14:15]
	global_load_dwordx2 v[14:15], v[2:3], off
	global_load_dwordx2 v[68:69], v80, s[12:13] offset:2376
	v_mov_b32_e32 v81, v101
	v_lshl_add_u64 v[2:3], v[2:3], 0, s[14:15]
	v_lshl_add_u64 v[44:45], s[12:13], 0, v[80:81]
	global_load_dwordx2 v[16:17], v[2:3], off
	v_lshl_add_u64 v[2:3], v[2:3], 0, s[14:15]
	s_movk_i32 s2, 0x1000
	global_load_dwordx2 v[70:71], v80, s[12:13] offset:3168
	global_load_dwordx2 v[18:19], v[2:3], off
	global_load_dwordx2 v[66:67], v80, s[12:13] offset:3960
	v_lshl_add_u64 v[4:5], v[2:3], 0, s[14:15]
	v_add_co_u32_e32 v2, vcc, s2, v44
	global_load_dwordx2 v[20:21], v[4:5], off
	s_nop 0
	v_addc_co_u32_e32 v3, vcc, 0, v45, vcc
	global_load_dwordx2 v[64:65], v[2:3], off offset:656
	v_lshl_add_u64 v[4:5], v[4:5], 0, s[14:15]
	global_load_dwordx2 v[22:23], v[4:5], off
	global_load_dwordx2 v[62:63], v[2:3], off offset:1448
	v_lshl_add_u64 v[4:5], v[4:5], 0, s[14:15]
	global_load_dwordx2 v[24:25], v[4:5], off
	;; [unrolled: 3-line block ×3, first 2 shown]
	global_load_dwordx2 v[58:59], v[2:3], off offset:3032
	v_lshl_add_u64 v[4:5], v[4:5], 0, s[14:15]
	s_movk_i32 s2, 0x2000
	global_load_dwordx2 v[28:29], v[4:5], off
	global_load_dwordx2 v[54:55], v[2:3], off offset:3824
	v_lshl_add_u64 v[6:7], v[4:5], 0, s[14:15]
	v_add_co_u32_e32 v4, vcc, s2, v44
	global_load_dwordx2 v[30:31], v[6:7], off
	s_nop 0
	v_addc_co_u32_e32 v5, vcc, 0, v45, vcc
	global_load_dwordx2 v[56:57], v[4:5], off offset:520
	v_lshl_add_u64 v[6:7], v[6:7], 0, s[14:15]
	global_load_dwordx2 v[32:33], v[6:7], off
	global_load_dwordx2 v[52:53], v[4:5], off offset:1312
	v_lshl_add_u64 v[6:7], v[6:7], 0, s[14:15]
	global_load_dwordx2 v[34:35], v[6:7], off
	global_load_dwordx2 v[50:51], v[4:5], off offset:2104
	v_lshl_add_u64 v[6:7], v[6:7], 0, s[14:15]
	s_load_dwordx4 s[4:7], s[6:7], 0x0
	global_load_dwordx2 v[36:37], v[6:7], off
	global_load_dwordx2 v[48:49], v[4:5], off offset:2896
	v_lshl_add_u64 v[6:7], v[6:7], 0, s[14:15]
	s_movk_i32 s2, 0x3000
	global_load_dwordx2 v[38:39], v[6:7], off
	global_load_dwordx2 v[46:47], v[4:5], off offset:3688
	v_add_co_u32_e32 v42, vcc, s2, v44
	v_lshl_add_u64 v[6:7], v[6:7], 0, s[14:15]
	v_accvgpr_write_b32 a4, v45             ;  Reload Reuse
	v_addc_co_u32_e32 v43, vcc, 0, v45, vcc
	global_load_dwordx2 v[40:41], v[6:7], off
	s_load_dwordx2 s[10:11], s[0:1], 0x38
	scratch_store_dword off, v44, off offset:24 ; 4-byte Folded Spill
	global_load_dwordx2 v[44:45], v[42:43], off offset:384
	v_cmp_gt_u16_e64 s[2:3], 48, v100
	s_waitcnt vmcnt(34)
	v_accvgpr_write_b32 a40, v76
	s_waitcnt vmcnt(33)
	v_mul_f32_e32 v42, v9, v77
	v_fmac_f32_e32 v42, v8, v76
	v_mul_f32_e32 v8, v8, v77
	v_fma_f32 v43, v9, v76, -v8
	s_waitcnt vmcnt(31)
	v_mul_f32_e32 v8, v11, v75
	v_mul_f32_e32 v9, v10, v75
	v_fmac_f32_e32 v8, v10, v74
	v_fma_f32 v9, v11, v74, -v9
	ds_write2_b64 v80, v[42:43], v[8:9] offset1:99
	s_waitcnt vmcnt(29)
	v_mul_f32_e32 v10, v13, v73
	v_mul_f32_e32 v8, v12, v73
	v_fmac_f32_e32 v10, v12, v72
	v_fma_f32 v11, v13, v72, -v8
	s_waitcnt vmcnt(27)
	v_mul_f32_e32 v12, v15, v69
	v_mul_f32_e32 v8, v14, v69
	v_fmac_f32_e32 v12, v14, v68
	v_fma_f32 v13, v15, v68, -v8
	v_add_u32_e32 v8, 0x400, v80
	s_waitcnt vmcnt(25)
	v_mul_f32_e32 v9, v16, v71
	ds_write2_b64 v8, v[10:11], v[12:13] offset0:70 offset1:169
	v_mul_f32_e32 v10, v17, v71
	v_fma_f32 v11, v17, v70, -v9
	s_waitcnt vmcnt(23)
	v_mul_f32_e32 v12, v19, v67
	v_mul_f32_e32 v9, v18, v67
	v_fmac_f32_e32 v10, v16, v70
	v_fmac_f32_e32 v12, v18, v66
	v_fma_f32 v13, v19, v66, -v9
	v_add_u32_e32 v9, 0x800, v80
	ds_write2_b64 v9, v[10:11], v[12:13] offset0:140 offset1:239
	s_waitcnt vmcnt(21)
	v_mul_f32_e32 v10, v20, v65
	v_mul_f32_e32 v12, v21, v65
	v_fma_f32 v13, v21, v64, -v10
	s_waitcnt vmcnt(19)
	v_mul_f32_e32 v14, v23, v63
	v_mul_f32_e32 v10, v22, v63
	v_fmac_f32_e32 v12, v20, v64
	v_fmac_f32_e32 v14, v22, v62
	v_fma_f32 v15, v23, v62, -v10
	v_add_u32_e32 v10, 0x1000, v80
	s_waitcnt vmcnt(17)
	v_mul_f32_e32 v11, v24, v61
	ds_write2_b64 v10, v[12:13], v[14:15] offset0:82 offset1:181
	v_mul_f32_e32 v12, v25, v61
	v_fma_f32 v13, v25, v60, -v11
	s_waitcnt vmcnt(15)
	v_mul_f32_e32 v14, v27, v59
	v_mul_f32_e32 v11, v26, v59
	v_fmac_f32_e32 v12, v24, v60
	v_fmac_f32_e32 v14, v26, v58
	v_fma_f32 v15, v27, v58, -v11
	v_add_u32_e32 v11, 0x1800, v80
	ds_write2_b64 v11, v[12:13], v[14:15] offset0:24 offset1:123
	s_waitcnt vmcnt(13)
	v_mul_f32_e32 v12, v28, v55
	v_mul_f32_e32 v14, v29, v55
	v_fma_f32 v15, v29, v54, -v12
	s_waitcnt vmcnt(11)
	v_mul_f32_e32 v16, v31, v57
	v_mul_f32_e32 v12, v30, v57
	v_fmac_f32_e32 v14, v28, v54
	;; [unrolled: 24-line block ×3, first 2 shown]
	v_fmac_f32_e32 v18, v38, v46
	v_fma_f32 v19, v39, v46, -v14
	v_add_u32_e32 v14, 0x2800, v80
	v_accvgpr_write_b32 a38, v74
	v_accvgpr_write_b32 a36, v72
	;; [unrolled: 1-line block ×15, first 2 shown]
	ds_write2_b64 v14, v[16:17], v[18:19] offset0:106 offset1:205
	s_waitcnt vmcnt(0)
	v_mul_f32_e32 v16, v41, v45
	v_mul_f32_e32 v15, v40, v45
	v_accvgpr_write_b32 a6, v44
	v_accvgpr_write_b32 a41, v77
	;; [unrolled: 1-line block ×17, first 2 shown]
	v_fmac_f32_e32 v16, v40, v44
	v_accvgpr_write_b32 a7, v45
	v_fma_f32 v17, v41, v44, -v15
	ds_write_b64 v80, v[16:17] offset:12672
	s_and_saveexec_b64 s[16:17], s[2:3]
	s_cbranch_execz .LBB0_3
; %bb.2:
	v_accvgpr_read_b32 v83, a4              ;  Reload Reuse
	scratch_load_dword v82, off, off offset:24 ; 4-byte Folded Reload
	v_mov_b32_e32 v15, 0xffffd018
	v_mad_u64_u32 v[6:7], s[18:19], s8, v15, v[6:7]
	s_mul_i32 s18, s9, 0xffffd018
	s_sub_i32 s18, s18, s8
	v_add_u32_e32 v7, s18, v7
	global_load_dwordx2 v[16:17], v[6:7], off
	v_lshl_add_u64 v[6:7], v[6:7], 0, s[14:15]
	v_or_b32_e32 v15, 0x600, v100
	v_mad_u64_u32 v[68:69], s[18:19], s8, v15, 0
	v_mov_b32_e32 v72, v69
	v_mad_u64_u32 v[72:73], s[18:19], s9, v15, v[72:73]
	v_mov_b32_e32 v69, v72
	v_lshlrev_b32_e32 v67, 3, v15
	v_lshl_add_u64 v[0:1], v[68:69], 3, v[0:1]
	v_mov_b32_e32 v78, 0x630
	s_mul_i32 s20, s9, 0x630
	s_waitcnt vmcnt(1)
	global_load_dwordx2 v[18:19], v[82:83], off offset:408
	global_load_dwordx2 v[20:21], v[6:7], off
	global_load_dwordx2 v[22:23], v[82:83], off offset:1200
	v_lshl_add_u64 v[6:7], v[6:7], 0, s[14:15]
	global_load_dwordx2 v[24:25], v[6:7], off
	global_load_dwordx2 v[26:27], v[82:83], off offset:1992
	global_load_dwordx2 v[28:29], v[82:83], off offset:2784
	v_lshl_add_u64 v[6:7], v[6:7], 0, s[14:15]
	global_load_dwordx2 v[30:31], v[6:7], off
	v_lshl_add_u64 v[6:7], v[6:7], 0, s[14:15]
	global_load_dwordx2 v[32:33], v[6:7], off
	global_load_dwordx2 v[34:35], v[82:83], off offset:3576
	v_lshl_add_u64 v[6:7], v[6:7], 0, s[14:15]
	global_load_dwordx2 v[36:37], v[6:7], off
	global_load_dwordx2 v[38:39], v[2:3], off offset:272
	;; [unrolled: 3-line block ×3, first 2 shown]
	global_load_dwordx2 v[44:45], v[2:3], off offset:1856
	v_lshl_add_u64 v[6:7], v[6:7], 0, s[14:15]
	global_load_dwordx2 v[46:47], v[6:7], off
	global_load_dwordx2 v[48:49], v[2:3], off offset:2648
	global_load_dwordx2 v[50:51], v[2:3], off offset:3440
	;; [unrolled: 1-line block ×4, first 2 shown]
	v_lshl_add_u64 v[2:3], v[6:7], 0, s[14:15]
	global_load_dwordx2 v[6:7], v[2:3], off
	v_lshl_add_u64 v[2:3], v[2:3], 0, s[14:15]
	global_load_dwordx2 v[56:57], v[2:3], off
	global_load_dwordx2 v[58:59], v[4:5], off offset:1720
	global_load_dwordx2 v[60:61], v[4:5], off offset:2512
	;; [unrolled: 1-line block ×3, first 2 shown]
	v_lshl_add_u64 v[2:3], v[2:3], 0, s[14:15]
	global_load_dwordx2 v[4:5], v[2:3], off
	v_lshl_add_u64 v[2:3], v[2:3], 0, s[14:15]
	global_load_dwordx2 v[64:65], v[2:3], off
	;; [unrolled: 2-line block ×4, first 2 shown]
	global_load_dwordx2 v[74:75], v67, s[12:13]
	v_lshl_add_u64 v[2:3], v[2:3], 0, s[14:15]
	global_load_dwordx2 v[0:1], v[0:1], off
	v_add_co_u32_e32 v66, vcc, 0x3000, v82
	global_load_dwordx2 v[72:73], v[2:3], off
	v_mad_u64_u32 v[2:3], s[8:9], s8, v78, v[2:3]
	v_addc_co_u32_e32 v67, vcc, 0, v83, vcc
	v_add_u32_e32 v3, s20, v3
	global_load_dwordx2 v[66:67], v[66:67], off offset:792
	s_waitcnt vmcnt(31)
	v_mul_f32_e32 v68, v17, v19
	global_load_dwordx2 v[2:3], v[2:3], off
	v_mul_f32_e32 v15, v16, v19
	v_fmac_f32_e32 v68, v16, v18
	v_fma_f32 v69, v17, v18, -v15
	s_waitcnt vmcnt(30)
	v_mul_f32_e32 v16, v21, v23
	v_mul_f32_e32 v15, v20, v23
	v_fmac_f32_e32 v16, v20, v22
	v_fma_f32 v17, v21, v22, -v15
	s_waitcnt vmcnt(28)
	v_mul_f32_e32 v15, v24, v27
	v_mul_f32_e32 v18, v25, v27
	ds_write2_b64 v80, v[68:69], v[16:17] offset0:51 offset1:150
	v_fma_f32 v19, v25, v26, -v15
	s_waitcnt vmcnt(26)
	v_mul_f32_e32 v16, v31, v29
	v_mul_f32_e32 v15, v30, v29
	v_fmac_f32_e32 v18, v24, v26
	v_fmac_f32_e32 v16, v30, v28
	v_fma_f32 v17, v31, v28, -v15
	s_waitcnt vmcnt(24)
	v_mul_f32_e32 v15, v32, v35
	ds_write2_b64 v8, v[18:19], v[16:17] offset0:121 offset1:220
	v_mul_f32_e32 v16, v33, v35
	v_fma_f32 v17, v33, v34, -v15
	s_waitcnt vmcnt(22)
	v_mul_f32_e32 v18, v37, v39
	v_mul_f32_e32 v15, v36, v39
	v_fmac_f32_e32 v16, v32, v34
	v_fmac_f32_e32 v18, v36, v38
	v_fma_f32 v19, v37, v38, -v15
	v_add_u32_e32 v15, 0xc00, v80
	ds_write2_b64 v15, v[16:17], v[18:19] offset0:63 offset1:162
	s_waitcnt vmcnt(20)
	v_mul_f32_e32 v15, v40, v43
	v_mul_f32_e32 v16, v41, v43
	v_fma_f32 v17, v41, v42, -v15
	s_waitcnt vmcnt(18)
	v_mul_f32_e32 v18, v47, v45
	v_mul_f32_e32 v15, v46, v45
	v_fmac_f32_e32 v16, v40, v42
	v_fmac_f32_e32 v18, v46, v44
	v_fma_f32 v19, v47, v44, -v15
	ds_write2_b64 v10, v[16:17], v[18:19] offset0:133 offset1:232
	s_waitcnt vmcnt(13)
	v_mul_f32_e32 v16, v7, v49
	v_fmac_f32_e32 v16, v6, v48
	v_mul_f32_e32 v6, v6, v49
	v_fma_f32 v17, v7, v48, -v6
	s_waitcnt vmcnt(12)
	v_mul_f32_e32 v6, v57, v51
	v_mul_f32_e32 v7, v56, v51
	v_fmac_f32_e32 v6, v56, v50
	v_fma_f32 v7, v57, v50, -v7
	ds_write2_b64 v11, v[16:17], v[6:7] offset0:75 offset1:174
	s_waitcnt vmcnt(8)
	v_mul_f32_e32 v6, v5, v53
	v_fmac_f32_e32 v6, v4, v52
	v_mul_f32_e32 v4, v4, v53
	v_fma_f32 v7, v5, v52, -v4
	s_waitcnt vmcnt(7)
	v_mul_f32_e32 v4, v65, v55
	v_mul_f32_e32 v5, v64, v55
	v_fmac_f32_e32 v4, v64, v54
	v_fma_f32 v5, v65, v54, -v5
	v_add_u32_e32 v15, 0x2000, v80
	ds_write2_b64 v15, v[6:7], v[4:5] offset0:17 offset1:116
	s_waitcnt vmcnt(6)
	v_mul_f32_e32 v4, v71, v59
	v_mul_f32_e32 v5, v70, v59
	s_waitcnt vmcnt(5)
	v_mul_f32_e32 v6, v77, v61
	v_mul_f32_e32 v7, v76, v61
	v_fmac_f32_e32 v4, v70, v58
	v_fma_f32 v5, v71, v58, -v5
	v_fmac_f32_e32 v6, v76, v60
	v_fma_f32 v7, v77, v60, -v7
	ds_write2_b64 v13, v[4:5], v[6:7] offset0:87 offset1:186
	s_waitcnt vmcnt(3)
	v_mul_f32_e32 v6, v1, v75
	s_waitcnt vmcnt(2)
	v_mul_f32_e32 v4, v73, v63
	v_mul_f32_e32 v5, v72, v63
	v_fmac_f32_e32 v6, v0, v74
	v_mul_f32_e32 v0, v0, v75
	v_fmac_f32_e32 v4, v72, v62
	v_fma_f32 v5, v73, v62, -v5
	v_fma_f32 v7, v1, v74, -v0
	v_add_u32_e32 v0, 0x2c00, v80
	ds_write2_b64 v0, v[4:5], v[6:7] offset0:29 offset1:128
	s_waitcnt vmcnt(0)
	v_mul_f32_e32 v0, v3, v67
	v_mul_f32_e32 v1, v2, v67
	v_fmac_f32_e32 v0, v2, v66
	v_fma_f32 v1, v3, v66, -v1
	ds_write_b64 v80, v[0:1] offset:13080
.LBB0_3:
	s_or_b64 exec, exec, s[16:17]
	s_waitcnt lgkmcnt(0)
	; wave barrier
	s_waitcnt lgkmcnt(0)
	ds_read2_b64 v[16:19], v80 offset1:99
	ds_read2_b64 v[60:63], v8 offset0:70 offset1:169
	ds_read2_b64 v[56:59], v9 offset0:140 offset1:239
	;; [unrolled: 1-line block ×7, first 2 shown]
	s_load_dwordx2 s[0:1], s[0:1], 0x8
	ds_read_b64 v[66:67], v80 offset:12672
	v_accvgpr_write_b32 a0, v80
	v_mov_b32_e32 v4, 0
	v_mov_b32_e32 v5, 0
                                        ; implicit-def: $agpr48
                                        ; implicit-def: $agpr54
                                        ; implicit-def: $agpr52
                                        ; implicit-def: $agpr62
                                        ; implicit-def: $agpr60
                                        ; implicit-def: $agpr70
                                        ; implicit-def: $agpr74
                                        ; implicit-def: $agpr68
	s_and_saveexec_b64 s[8:9], s[2:3]
	s_cbranch_execz .LBB0_5
; %bb.4:
	v_accvgpr_read_b32 v2, a0
	v_add_u32_e32 v0, 0x400, v2
	ds_read2_b64 a[66:69], v0 offset0:121 offset1:220
	v_add_u32_e32 v0, 0xc00, v2
	ds_read2_b64 a[58:61], v0 offset0:63 offset1:162
	;; [unrolled: 2-line block ×7, first 2 shown]
	ds_read2_b64 a[72:75], v0 offset0:29 offset1:128
	ds_read_b64 a[70:71], v2 offset:13080
.LBB0_5:
	s_or_b64 exec, exec, s[8:9]
	s_waitcnt lgkmcnt(0)
	v_pk_add_f32 v[68:69], v[16:17], v[18:19]
	v_pk_add_f32 v[120:121], v[46:47], v[52:53]
	v_pk_add_f32 v[68:69], v[68:69], v[60:61]
	v_pk_add_f32 v[76:77], v[52:53], v[46:47] neg_lo:[0,1] neg_hi:[0,1]
	v_pk_add_f32 v[68:69], v[68:69], v[62:63]
	v_pk_add_f32 v[128:129], v[38:39], v[60:61]
	v_pk_add_f32 v[68:69], v[68:69], v[56:57]
	v_pk_add_f32 v[0:1], v[60:61], v[38:39] neg_lo:[0,1] neg_hi:[0,1]
	;; [unrolled: 4-line block ×6, first 2 shown]
	v_pk_add_f32 v[40:41], v[40:41], v[42:43]
	s_mov_b32 s26, 0xbeb8f4ab
	v_pk_add_f32 v[36:37], v[40:41], v[36:37]
	v_pk_add_f32 v[130:131], v[66:67], v[18:19]
	v_pk_add_f32 v[70:71], v[18:19], v[66:67] neg_lo:[0,1] neg_hi:[0,1]
	s_mov_b32 s27, 0x3f6eb680
	v_pk_add_f32 v[36:37], v[36:37], v[38:39]
	s_mov_b32 s56, s27
	s_mov_b32 s57, s26
	v_mul_lo_u16_e32 v2, 17, v100
	v_pk_add_f32 v[54:55], v[36:37], v[66:67]
	v_mov_b32_e32 v37, v131
	v_mov_b32_e32 v131, v70
	v_lshlrev_b32_e32 v170, 3, v2
	v_mov_b32_e32 v36, v71
	v_pk_mul_f32 v[2:3], v[130:131], s[56:57]
	v_pk_add_f32 v[124:125], v[42:43], v[56:57]
	v_pk_add_f32 v[72:73], v[56:57], v[42:43] neg_lo:[0,1] neg_hi:[0,1]
	s_mov_b32 s8, 0xbf2c7751
	v_pk_fma_f32 v[42:43], v[36:37], s[26:27], v[2:3] neg_lo:[1,0,0] neg_hi:[1,0,0]
	v_pk_fma_f32 v[8:9], v[36:37], s[26:27], v[2:3]
	s_mov_b32 s9, 0x3f3d2fb0
	v_mov_b32_e32 v43, v9
	v_pk_add_f32 v[48:49], v[16:17], v[42:43]
	v_mov_b32_e32 v43, v129
	v_mov_b32_e32 v129, v0
	s_mov_b32 s44, s9
	s_mov_b32 s45, s8
	v_accvgpr_write_b32 a79, v3
	v_mov_b32_e32 v42, v1
	v_pk_mul_f32 v[0:1], v[128:129], s[44:45]
	s_mov_b32 s16, 0xbf65296c
	v_accvgpr_write_b32 a78, v2
	v_pk_fma_f32 v[50:51], v[42:43], s[8:9], v[0:1] neg_lo:[1,0,0] neg_hi:[1,0,0]
	v_pk_fma_f32 v[2:3], v[42:43], s[8:9], v[0:1]
	s_mov_b32 s17, 0x3ee437d1
	v_mov_b32_e32 v51, v3
	v_accvgpr_write_b32 a83, v1
	v_pk_add_f32 v[56:57], v[50:51], v[48:49]
	v_mov_b32_e32 v49, v127
	v_mov_b32_e32 v127, v62
	s_mov_b32 s46, s17
	s_mov_b32 s47, s16
	v_accvgpr_write_b32 a82, v0
	v_mov_b32_e32 v48, v63
	v_pk_mul_f32 v[0:1], v[126:127], s[46:47]
	s_mov_b32 s14, 0xbf7ee86f
	v_accvgpr_write_b32 a80, v2
	v_pk_fma_f32 v[58:59], v[48:49], s[16:17], v[0:1] neg_lo:[1,0,0] neg_hi:[1,0,0]
	v_pk_fma_f32 v[2:3], v[48:49], s[16:17], v[0:1]
	s_mov_b32 s15, 0x3dbcf732
	v_mov_b32_e32 v59, v3
	v_accvgpr_write_b32 a87, v1
	;; [unrolled: 15-line block ×3, first 2 shown]
	v_pk_add_f32 v[70:71], v[66:67], v[62:63]
	v_mov_b32_e32 v63, v123
	v_mov_b32_e32 v123, v74
	s_mov_b32 s50, s21
	s_mov_b32 s51, s20
	v_accvgpr_write_b32 a90, v0
	v_mov_b32_e32 v62, v75
	v_pk_mul_f32 v[0:1], v[122:123], s[50:51]
	s_mov_b32 s18, 0xbf4c4adb
	v_pk_fma_f32 v[72:73], v[62:63], s[20:21], v[0:1] neg_lo:[1,0,0] neg_hi:[1,0,0]
	v_pk_fma_f32 v[68:69], v[62:63], s[20:21], v[0:1]
	s_mov_b32 s19, 0xbf1a4643
	v_mov_b32_e32 v73, v69
	v_accvgpr_write_b32 a93, v1
	v_pk_add_f32 v[80:81], v[72:73], v[70:71]
	v_mov_b32_e32 v71, v121
	v_mov_b32_e32 v121, v76
	s_mov_b32 s52, s19
	s_mov_b32 s53, s18
	v_accvgpr_write_b32 a92, v0
	v_mov_b32_e32 v70, v77
	v_pk_mul_f32 v[0:1], v[120:121], s[52:53]
	s_mov_b32 s24, 0xbf06c442
	v_pk_fma_f32 v[76:77], v[70:71], s[18:19], v[0:1] neg_lo:[1,0,0] neg_hi:[1,0,0]
	v_pk_fma_f32 v[72:73], v[70:71], s[18:19], v[0:1]
	s_mov_b32 s25, 0xbf59a7d5
	v_mov_b32_e32 v77, v73
	v_accvgpr_write_b32 a95, v1
	;; [unrolled: 14-line block ×3, first 2 shown]
	v_pk_add_f32 v[88:89], v[86:87], v[82:83]
	v_mov_b32_e32 v83, v61
	v_mov_b32_e32 v61, v84
	s_mov_b32 s60, s23
	s_mov_b32 s61, s22
	v_accvgpr_write_b32 a96, v0
	v_mov_b32_e32 v82, v85
	v_pk_mul_f32 v[0:1], v[60:61], s[60:61]
	s_nop 0
	v_pk_fma_f32 v[90:91], v[82:83], s[22:23], v[0:1] neg_lo:[1,0,0] neg_hi:[1,0,0]
	v_pk_fma_f32 v[84:85], v[82:83], s[22:23], v[0:1]
	; wave barrier
	s_nop 0
	v_mov_b32_e32 v91, v85
	v_pk_add_f32 v[88:89], v[90:91], v[88:89]
	ds_write2_b64 v170, v[54:55], v[88:89] offset1:1
	v_pk_mul_f32 v[88:89], v[130:131], s[44:45]
	v_pk_mul_f32 v[86:87], v[128:129], s[48:49]
	v_pk_fma_f32 v[90:91], v[36:37], s[8:9], v[88:89] neg_lo:[1,0,0] neg_hi:[1,0,0]
	v_pk_fma_f32 v[66:67], v[36:37], s[8:9], v[88:89]
	v_pk_fma_f32 v[96:97], v[42:43], s[14:15], v[86:87] neg_lo:[1,0,0] neg_hi:[1,0,0]
	v_mov_b32_e32 v91, v67
	v_pk_add_f32 v[94:95], v[16:17], v[90:91]
	v_pk_fma_f32 v[90:91], v[42:43], s[14:15], v[86:87]
	v_accvgpr_write_b32 a2, v100
	v_mov_b32_e32 v97, v91
	v_pk_add_f32 v[98:99], v[96:97], v[94:95]
	v_pk_mul_f32 v[96:97], v[126:127], s[52:53]
	v_accvgpr_write_b32 a3, v101
	v_pk_fma_f32 v[100:101], v[48:49], s[18:19], v[96:97] neg_lo:[1,0,0] neg_hi:[1,0,0]
	v_pk_fma_f32 v[94:95], v[48:49], s[18:19], v[96:97]
	s_mov_b32 s28, 0x3f06c442
	v_mov_b32_e32 v101, v95
	v_pk_add_f32 v[102:103], v[100:101], v[98:99]
	v_pk_mul_f32 v[100:101], v[124:125], s[60:61]
	s_mov_b32 s62, s25
	v_pk_fma_f32 v[104:105], v[56:57], s[22:23], v[100:101] neg_lo:[1,0,0] neg_hi:[1,0,0]
	v_pk_fma_f32 v[98:99], v[56:57], s[22:23], v[100:101]
	s_mov_b32 s63, s28
	v_mov_b32_e32 v105, v99
	v_pk_add_f32 v[106:107], v[104:105], v[102:103]
	s_mov_b32 s29, s25
	v_pk_mul_f32 v[104:105], v[122:123], s[62:63]
	s_mov_b32 s30, 0x3f763a35
	v_pk_fma_f32 v[108:109], v[62:63], s[28:29], v[104:105] neg_lo:[1,0,0] neg_hi:[1,0,0]
	v_pk_fma_f32 v[102:103], v[62:63], s[28:29], v[104:105]
	s_mov_b32 s64, s21
	v_mov_b32_e32 v109, v103
	s_mov_b32 s65, s30
	v_pk_add_f32 v[110:111], v[108:109], v[106:107]
	s_mov_b32 s31, s21
	v_pk_mul_f32 v[108:109], v[120:121], s[64:65]
	s_mov_b32 s34, 0x3f65296c
	v_pk_fma_f32 v[112:113], v[70:71], s[30:31], v[108:109] neg_lo:[1,0,0] neg_hi:[1,0,0]
	v_pk_fma_f32 v[106:107], v[70:71], s[30:31], v[108:109]
	s_mov_b32 s66, s17
	v_mov_b32_e32 v113, v107
	s_mov_b32 s67, s34
	;; [unrolled: 9-line block ×3, first 2 shown]
	v_pk_add_f32 v[132:133], v[116:117], v[114:115]
	s_mov_b32 s37, s27
	v_pk_mul_f32 v[116:117], v[60:61], s[68:69]
	v_pk_mul_f32 v[80:81], v[128:129], s[52:53]
	v_pk_fma_f32 v[134:135], v[82:83], s[36:37], v[116:117] neg_lo:[1,0,0] neg_hi:[1,0,0]
	v_pk_fma_f32 v[114:115], v[82:83], s[36:37], v[116:117]
	v_pk_fma_f32 v[142:143], v[42:43], s[18:19], v[80:81] neg_lo:[1,0,0] neg_hi:[1,0,0]
	v_mov_b32_e32 v135, v115
	v_pk_add_f32 v[164:165], v[134:135], v[132:133]
	v_pk_mul_f32 v[134:135], v[130:131], s[46:47]
	s_mov_b32 s54, 0x3e3c28d5
	v_pk_fma_f32 v[136:137], v[36:37], s[16:17], v[134:135] neg_lo:[1,0,0] neg_hi:[1,0,0]
	v_pk_fma_f32 v[132:133], v[36:37], s[16:17], v[134:135]
	s_mov_b32 s38, s23
	v_mov_b32_e32 v137, v133
	v_pk_add_f32 v[140:141], v[16:17], v[136:137]
	v_pk_fma_f32 v[136:137], v[42:43], s[18:19], v[80:81]
	s_mov_b32 s39, s54
	v_mov_b32_e32 v143, v137
	v_pk_add_f32 v[144:145], v[142:143], v[140:141]
	s_mov_b32 s55, s23
	v_pk_mul_f32 v[142:143], v[126:127], s[38:39]
	s_mov_b32 s38, 0x3f2c7751
	v_pk_fma_f32 v[146:147], v[48:49], s[54:55], v[142:143] neg_lo:[1,0,0] neg_hi:[1,0,0]
	v_pk_fma_f32 v[140:141], v[48:49], s[54:55], v[142:143]
	s_mov_b32 s70, s9
	v_mov_b32_e32 v147, v141
	v_pk_add_f32 v[148:149], v[146:147], v[144:145]
	v_pk_mul_f32 v[146:147], v[124:125], s[64:65]
	s_mov_b32 s71, s38
	v_pk_fma_f32 v[150:151], v[56:57], s[30:31], v[146:147] neg_lo:[1,0,0] neg_hi:[1,0,0]
	v_pk_fma_f32 v[144:145], v[56:57], s[30:31], v[146:147]
	s_mov_b32 s39, s9
	v_mov_b32_e32 v151, v145
	v_pk_add_f32 v[152:153], v[150:151], v[148:149]
	v_pk_mul_f32 v[150:151], v[122:123], s[70:71]
	v_pk_mul_f32 v[74:75], v[128:129], s[60:61]
	v_pk_fma_f32 v[154:155], v[62:63], s[38:39], v[150:151] neg_lo:[1,0,0] neg_hi:[1,0,0]
	v_pk_fma_f32 v[148:149], v[62:63], s[38:39], v[150:151]
	v_pk_fma_f32 v[174:175], v[42:43], s[22:23], v[74:75] neg_lo:[1,0,0] neg_hi:[1,0,0]
	v_mov_b32_e32 v155, v149
	v_pk_add_f32 v[156:157], v[154:155], v[152:153]
	v_pk_mul_f32 v[154:155], v[120:121], s[56:57]
	s_mov_b32 s42, 0x3f4c4adb
	v_pk_fma_f32 v[158:159], v[70:71], s[26:27], v[154:155] neg_lo:[1,0,0] neg_hi:[1,0,0]
	v_pk_fma_f32 v[152:153], v[70:71], s[26:27], v[154:155]
	s_mov_b32 s74, s19
	v_mov_b32_e32 v159, v153
	v_pk_add_f32 v[160:161], v[158:159], v[156:157]
	v_pk_mul_f32 v[158:159], v[118:119], s[48:49]
	s_mov_b32 s75, s42
	v_pk_fma_f32 v[162:163], v[76:77], s[14:15], v[158:159] neg_lo:[1,0,0] neg_hi:[1,0,0]
	v_pk_fma_f32 v[156:157], v[76:77], s[14:15], v[158:159]
	s_mov_b32 s43, s19
	v_mov_b32_e32 v163, v157
	v_pk_add_f32 v[166:167], v[162:163], v[160:161]
	v_pk_mul_f32 v[162:163], v[60:61], s[58:59]
	v_pk_mul_f32 v[204:205], v[128:129], s[62:63]
	v_pk_fma_f32 v[168:169], v[82:83], s[24:25], v[162:163] neg_lo:[1,0,0] neg_hi:[1,0,0]
	v_pk_fma_f32 v[160:161], v[82:83], s[24:25], v[162:163]
	v_pk_fma_f32 v[208:209], v[42:43], s[28:29], v[204:205] neg_lo:[1,0,0] neg_hi:[1,0,0]
	v_mov_b32_e32 v169, v161
	v_pk_add_f32 v[166:167], v[168:169], v[166:167]
	ds_write2_b64 v170, v[164:165], v[166:167] offset0:2 offset1:3
	v_pk_mul_f32 v[166:167], v[130:131], s[48:49]
	s_mov_b32 s40, 0x3f7ee86f
	v_pk_fma_f32 v[168:169], v[36:37], s[14:15], v[166:167] neg_lo:[1,0,0] neg_hi:[1,0,0]
	v_pk_fma_f32 v[164:165], v[36:37], s[14:15], v[166:167]
	s_mov_b32 s72, s15
	v_mov_b32_e32 v169, v165
	v_pk_add_f32 v[172:173], v[16:17], v[168:169]
	v_pk_fma_f32 v[168:169], v[42:43], s[22:23], v[74:75]
	s_mov_b32 s73, s40
	v_mov_b32_e32 v175, v169
	v_pk_add_f32 v[176:177], v[174:175], v[172:173]
	v_pk_mul_f32 v[174:175], v[126:127], s[64:65]
	s_mov_b32 s41, s15
	v_pk_fma_f32 v[178:179], v[48:49], s[30:31], v[174:175] neg_lo:[1,0,0] neg_hi:[1,0,0]
	v_pk_fma_f32 v[172:173], v[48:49], s[30:31], v[174:175]
	v_pk_mul_f32 v[58:59], v[128:129], s[64:65]
	v_mov_b32_e32 v179, v173
	v_pk_add_f32 v[180:181], v[178:179], v[176:177]
	v_pk_mul_f32 v[178:179], v[124:125], s[68:69]
	v_pk_fma_f32 v[238:239], v[42:43], s[30:31], v[58:59] neg_lo:[1,0,0] neg_hi:[1,0,0]
	v_pk_fma_f32 v[182:183], v[56:57], s[36:37], v[178:179] neg_lo:[1,0,0] neg_hi:[1,0,0]
	v_pk_fma_f32 v[176:177], v[56:57], s[36:37], v[178:179]
	v_pk_fma_f32 v[240:241], v[42:43], s[30:31], v[58:59]
	v_mov_b32_e32 v183, v177
	v_pk_add_f32 v[184:185], v[182:183], v[180:181]
	v_pk_mul_f32 v[182:183], v[122:123], s[46:47]
	v_mov_b32_e32 v239, v241
	v_pk_fma_f32 v[186:187], v[62:63], s[16:17], v[182:183] neg_lo:[1,0,0] neg_hi:[1,0,0]
	v_pk_fma_f32 v[180:181], v[62:63], s[16:17], v[182:183]
	v_pk_mul_f32 v[54:55], v[130:131], s[58:59]
	v_mov_b32_e32 v187, v181
	v_pk_add_f32 v[188:189], v[186:187], v[184:185]
	v_pk_mul_f32 v[186:187], v[120:121], s[58:59]
	v_pk_fma_f32 v[12:13], v[36:37], s[24:25], v[54:55] neg_lo:[1,0,0] neg_hi:[1,0,0]
	v_pk_fma_f32 v[190:191], v[70:71], s[24:25], v[186:187] neg_lo:[1,0,0] neg_hi:[1,0,0]
	v_pk_fma_f32 v[184:185], v[70:71], s[24:25], v[186:187]
	v_pk_fma_f32 v[34:35], v[36:37], s[24:25], v[54:55]
	v_mov_b32_e32 v191, v185
	v_pk_add_f32 v[194:195], v[190:191], v[188:189]
	v_pk_mul_f32 v[190:191], v[118:119], s[74:75]
	v_pk_mul_f32 v[52:53], v[128:129], s[66:67]
	v_pk_fma_f32 v[196:197], v[76:77], s[42:43], v[190:191] neg_lo:[1,0,0] neg_hi:[1,0,0]
	v_pk_fma_f32 v[188:189], v[76:77], s[42:43], v[190:191]
	v_mov_b32_e32 v13, v35
	v_mov_b32_e32 v197, v189
	v_pk_add_f32 v[198:199], v[196:197], v[194:195]
	v_pk_mul_f32 v[196:197], v[60:61], s[70:71]
	v_pk_fma_f32 v[18:19], v[42:43], s[34:35], v[52:53] neg_lo:[1,0,0] neg_hi:[1,0,0]
	v_pk_fma_f32 v[200:201], v[82:83], s[38:39], v[196:197] neg_lo:[1,0,0] neg_hi:[1,0,0]
	v_pk_fma_f32 v[194:195], v[82:83], s[38:39], v[196:197]
	v_pk_fma_f32 v[20:21], v[42:43], s[34:35], v[52:53]
	v_mov_b32_e32 v201, v195
	v_pk_add_f32 v[230:231], v[200:201], v[198:199]
	v_pk_mul_f32 v[200:201], v[130:131], s[50:51]
	v_pk_mul_f32 v[50:51], v[126:127], s[48:49]
	v_pk_fma_f32 v[202:203], v[36:37], s[20:21], v[200:201] neg_lo:[1,0,0] neg_hi:[1,0,0]
	v_pk_fma_f32 v[198:199], v[36:37], s[20:21], v[200:201]
	v_pk_add_f32 v[12:13], v[16:17], v[12:13]
	v_mov_b32_e32 v203, v199
	v_pk_add_f32 v[206:207], v[16:17], v[202:203]
	v_pk_fma_f32 v[202:203], v[42:43], s[28:29], v[204:205]
	v_mov_b32_e32 v19, v21
	v_mov_b32_e32 v209, v203
	v_pk_add_f32 v[210:211], v[208:209], v[206:207]
	v_pk_mul_f32 v[208:209], v[126:127], s[70:71]
	v_pk_fma_f32 v[22:23], v[48:49], s[14:15], v[50:51] neg_lo:[1,0,0] neg_hi:[1,0,0]
	v_pk_fma_f32 v[212:213], v[48:49], s[38:39], v[208:209] neg_lo:[1,0,0] neg_hi:[1,0,0]
	v_pk_fma_f32 v[206:207], v[48:49], s[38:39], v[208:209]
	v_pk_fma_f32 v[24:25], v[48:49], s[14:15], v[50:51]
	v_mov_b32_e32 v213, v207
	v_pk_add_f32 v[214:215], v[212:213], v[210:211]
	v_pk_mul_f32 v[212:213], v[124:125], s[46:47]
	v_pk_mul_f32 v[46:47], v[124:125], s[74:75]
	v_pk_fma_f32 v[216:217], v[56:57], s[16:17], v[212:213] neg_lo:[1,0,0] neg_hi:[1,0,0]
	v_pk_fma_f32 v[210:211], v[56:57], s[16:17], v[212:213]
	v_pk_add_f32 v[12:13], v[18:19], v[12:13]
	v_mov_b32_e32 v217, v211
	v_pk_add_f32 v[218:219], v[216:217], v[214:215]
	v_pk_mul_f32 v[216:217], v[122:123], s[60:61]
	v_mov_b32_e32 v23, v25
	v_pk_fma_f32 v[220:221], v[62:63], s[22:23], v[216:217] neg_lo:[1,0,0] neg_hi:[1,0,0]
	v_pk_fma_f32 v[214:215], v[62:63], s[22:23], v[216:217]
	v_pk_fma_f32 v[26:27], v[56:57], s[42:43], v[46:47] neg_lo:[1,0,0] neg_hi:[1,0,0]
	v_mov_b32_e32 v221, v215
	v_pk_add_f32 v[222:223], v[220:221], v[218:219]
	v_pk_mul_f32 v[220:221], v[120:121], s[72:73]
	v_pk_fma_f32 v[28:29], v[56:57], s[42:43], v[46:47]
	v_pk_fma_f32 v[224:225], v[70:71], s[40:41], v[220:221] neg_lo:[1,0,0] neg_hi:[1,0,0]
	v_pk_fma_f32 v[218:219], v[70:71], s[40:41], v[220:221]
	v_pk_mul_f32 v[44:45], v[122:123], s[56:57]
	v_mov_b32_e32 v225, v219
	v_pk_add_f32 v[226:227], v[224:225], v[222:223]
	v_pk_mul_f32 v[224:225], v[118:119], s[56:57]
	v_pk_add_f32 v[12:13], v[22:23], v[12:13]
	v_pk_fma_f32 v[228:229], v[76:77], s[26:27], v[224:225] neg_lo:[1,0,0] neg_hi:[1,0,0]
	v_pk_fma_f32 v[222:223], v[76:77], s[26:27], v[224:225]
	v_mov_b32_e32 v27, v29
	v_mov_b32_e32 v229, v223
	v_pk_add_f32 v[232:233], v[228:229], v[226:227]
	v_pk_mul_f32 v[228:229], v[60:61], s[52:53]
	v_pk_fma_f32 v[30:31], v[62:63], s[26:27], v[44:45] neg_lo:[1,0,0] neg_hi:[1,0,0]
	v_pk_fma_f32 v[234:235], v[82:83], s[18:19], v[228:229] neg_lo:[1,0,0] neg_hi:[1,0,0]
	v_pk_fma_f32 v[226:227], v[82:83], s[18:19], v[228:229]
	v_pk_fma_f32 v[18:19], v[62:63], s[26:27], v[44:45]
	v_mov_b32_e32 v235, v227
	v_pk_add_f32 v[232:233], v[234:235], v[232:233]
	ds_write2_b64 v170, v[230:231], v[232:233] offset0:4 offset1:5
	v_pk_mul_f32 v[230:231], v[130:131], s[52:53]
	v_pk_add_f32 v[12:13], v[26:27], v[12:13]
	v_pk_fma_f32 v[232:233], v[36:37], s[18:19], v[230:231] neg_lo:[1,0,0] neg_hi:[1,0,0]
	v_pk_fma_f32 v[234:235], v[36:37], s[18:19], v[230:231]
	v_mov_b32_e32 v31, v19
	v_mov_b32_e32 v233, v235
	v_pk_add_f32 v[232:233], v[16:17], v[232:233]
	v_pk_mul_f32 v[26:27], v[120:121], s[60:61]
	v_pk_add_f32 v[232:233], v[238:239], v[232:233]
	v_pk_mul_f32 v[238:239], v[126:127], s[56:57]
	v_accvgpr_write_b32 a88, v2
	v_pk_fma_f32 v[242:243], v[48:49], s[26:27], v[238:239] neg_lo:[1,0,0] neg_hi:[1,0,0]
	v_pk_fma_f32 v[244:245], v[48:49], s[26:27], v[238:239]
	v_pk_add_f32 v[2:3], v[30:31], v[12:13]
	v_mov_b32_e32 v243, v245
	v_pk_add_f32 v[232:233], v[242:243], v[232:233]
	v_pk_mul_f32 v[242:243], v[124:125], s[58:59]
	v_pk_fma_f32 v[30:31], v[70:71], s[22:23], v[26:27] neg_lo:[1,0,0] neg_hi:[1,0,0]
	v_pk_fma_f32 v[246:247], v[56:57], s[24:25], v[242:243] neg_lo:[1,0,0] neg_hi:[1,0,0]
	v_pk_fma_f32 v[248:249], v[56:57], s[24:25], v[242:243]
	v_pk_fma_f32 v[192:193], v[70:71], s[22:23], v[26:27]
	v_mov_b32_e32 v247, v249
	v_pk_add_f32 v[232:233], v[246:247], v[232:233]
	v_pk_mul_f32 v[246:247], v[122:123], s[72:73]
	v_mov_b32_e32 v31, v193
	v_pk_fma_f32 v[250:251], v[62:63], s[40:41], v[246:247] neg_lo:[1,0,0] neg_hi:[1,0,0]
	v_pk_fma_f32 v[252:253], v[62:63], s[40:41], v[246:247]
	v_accvgpr_write_b32 a45, v7
	v_mov_b32_e32 v251, v253
	v_pk_add_f32 v[232:233], v[250:251], v[232:233]
	v_pk_mul_f32 v[250:251], v[120:121], s[44:45]
	v_pk_add_f32 v[2:3], v[30:31], v[2:3]
	v_pk_fma_f32 v[254:255], v[70:71], s[8:9], v[250:251] neg_lo:[1,0,0] neg_hi:[1,0,0]
	v_pk_fma_f32 v[64:65], v[70:71], s[8:9], v[250:251]
	v_pk_mul_f32 v[30:31], v[118:119], s[70:71]
	v_mov_b32_e32 v255, v65
	v_pk_add_f32 v[232:233], v[254:255], v[232:233]
	v_pk_mul_f32 v[254:255], v[118:119], s[60:61]
	v_accvgpr_write_b32 a44, v6
	v_accvgpr_write_b32 a43, v5
	;; [unrolled: 1-line block ×3, first 2 shown]
	v_pk_fma_f32 v[4:5], v[76:77], s[22:23], v[254:255] neg_lo:[1,0,0] neg_hi:[1,0,0]
	v_pk_fma_f32 v[40:41], v[76:77], s[22:23], v[254:255]
	v_pk_fma_f32 v[138:139], v[76:77], s[38:39], v[30:31] neg_lo:[1,0,0] neg_hi:[1,0,0]
	v_pk_fma_f32 v[236:237], v[76:77], s[38:39], v[30:31]
	v_mov_b32_e32 v5, v41
	v_mov_b32_e32 v139, v237
	v_pk_add_f32 v[4:5], v[4:5], v[232:233]
	v_pk_mul_f32 v[232:233], v[60:61], s[66:67]
	v_pk_add_f32 v[2:3], v[138:139], v[2:3]
	v_pk_mul_f32 v[138:139], v[60:61], s[50:51]
	v_accvgpr_write_b32 a76, v8
	v_pk_fma_f32 v[8:9], v[82:83], s[34:35], v[232:233] neg_lo:[1,0,0] neg_hi:[1,0,0]
	v_pk_fma_f32 v[92:93], v[82:83], s[34:35], v[232:233]
	v_mov_b64_e32 v[38:39], v[16:17]
	v_pk_fma_f32 v[32:33], v[82:83], s[20:21], v[138:139] neg_lo:[1,0,0] neg_hi:[1,0,0]
	v_pk_fma_f32 v[16:17], v[82:83], s[20:21], v[138:139]
	v_mov_b32_e32 v9, v93
	v_mov_b32_e32 v33, v17
	v_pk_add_f32 v[8:9], v[8:9], v[4:5]
	v_pk_add_f32 v[2:3], v[32:33], v[2:3]
	v_pk_mul_f32 v[22:23], v[130:131], s[60:61]
	ds_write2_b64 v170, v[8:9], v[2:3] offset0:6 offset1:7
	v_pk_fma_f32 v[8:9], v[36:37], s[22:23], v[22:23] neg_lo:[1,0,0] neg_hi:[1,0,0]
	v_pk_fma_f32 v[32:33], v[36:37], s[22:23], v[22:23]
	v_pk_mul_f32 v[128:129], v[128:129], s[68:69]
	v_pk_fma_f32 v[22:23], v[36:37], s[22:23], v[22:23] neg_lo:[0,0,1] neg_hi:[0,0,1]
	v_accvgpr_write_b32 a99, v1
	v_mov_b32_e32 v9, v33
	v_pk_fma_f32 v[130:131], v[42:43], s[36:37], v[128:129] neg_lo:[1,0,0] neg_hi:[1,0,0]
	v_pk_fma_f32 v[12:13], v[42:43], s[36:37], v[128:129]
	v_mov_b32_e32 v33, v23
	v_pk_fma_f32 v[22:23], v[42:43], s[36:37], v[128:129] neg_lo:[0,0,1] neg_hi:[0,0,1]
	v_accvgpr_write_b32 a98, v0
	v_pk_add_f32 v[0:1], v[38:39], v[8:9]
	v_mov_b32_e32 v131, v13
	v_pk_mul_f32 v[126:127], v[126:127], s[58:59]
	v_mov_b32_e32 v13, v23
	v_pk_add_f32 v[22:23], v[38:39], v[32:33]
	v_pk_add_f32 v[0:1], v[130:131], v[0:1]
	v_pk_fma_f32 v[130:131], v[48:49], s[24:25], v[126:127] neg_lo:[1,0,0] neg_hi:[1,0,0]
	v_pk_fma_f32 v[10:11], v[48:49], s[24:25], v[126:127]
	v_pk_add_f32 v[12:13], v[12:13], v[22:23]
	v_pk_fma_f32 v[22:23], v[48:49], s[24:25], v[126:127] neg_lo:[0,0,1] neg_hi:[0,0,1]
	v_mov_b32_e32 v131, v11
	v_pk_mul_f32 v[124:125], v[124:125], s[70:71]
	v_mov_b32_e32 v11, v23
	v_pk_add_f32 v[0:1], v[130:131], v[0:1]
	v_pk_fma_f32 v[130:131], v[56:57], s[38:39], v[124:125] neg_lo:[1,0,0] neg_hi:[1,0,0]
	v_pk_fma_f32 v[8:9], v[56:57], s[38:39], v[124:125]
	v_pk_add_f32 v[10:11], v[10:11], v[12:13]
	v_pk_fma_f32 v[12:13], v[56:57], s[38:39], v[124:125] neg_lo:[0,0,1] neg_hi:[0,0,1]
	v_mov_b32_e32 v131, v9
	v_pk_mul_f32 v[122:123], v[122:123], s[52:53]
	v_mov_b32_e32 v9, v13
	;; [unrolled: 8-line block ×5, first 2 shown]
	v_pk_add_f32 v[14:15], v[130:131], v[0:1]
	v_pk_fma_f32 v[130:131], v[82:83], s[40:41], v[60:61] neg_lo:[1,0,0] neg_hi:[1,0,0]
	v_pk_fma_f32 v[0:1], v[82:83], s[40:41], v[60:61]
	v_pk_add_f32 v[2:3], v[2:3], v[4:5]
	v_pk_fma_f32 v[4:5], v[82:83], s[40:41], v[60:61] neg_lo:[0,0,1] neg_hi:[0,0,1]
	v_mov_b32_e32 v131, v1
	v_mov_b32_e32 v1, v5
	v_pk_add_f32 v[0:1], v[0:1], v[2:3]
	v_pk_fma_f32 v[2:3], v[48:49], s[14:15], v[50:51] neg_lo:[0,0,1] neg_hi:[0,0,1]
	v_pk_add_f32 v[14:15], v[130:131], v[14:15]
	v_mov_b32_e32 v25, v3
	v_pk_fma_f32 v[2:3], v[56:57], s[42:43], v[46:47] neg_lo:[0,0,1] neg_hi:[0,0,1]
	ds_write2_b64 v170, v[14:15], v[0:1] offset0:8 offset1:9
	v_mov_b32_e32 v29, v3
	v_pk_fma_f32 v[2:3], v[62:63], s[26:27], v[44:45] neg_lo:[0,0,1] neg_hi:[0,0,1]
	v_pk_fma_f32 v[0:1], v[36:37], s[24:25], v[54:55] neg_lo:[0,0,1] neg_hi:[0,0,1]
	v_mov_b32_e32 v19, v3
	v_pk_fma_f32 v[2:3], v[70:71], s[22:23], v[26:27] neg_lo:[0,0,1] neg_hi:[0,0,1]
	v_mov_b32_e32 v35, v1
	v_mov_b32_e32 v193, v3
	v_pk_fma_f32 v[2:3], v[76:77], s[38:39], v[30:31] neg_lo:[0,0,1] neg_hi:[0,0,1]
	v_pk_fma_f32 v[0:1], v[42:43], s[34:35], v[52:53] neg_lo:[0,0,1] neg_hi:[0,0,1]
	v_mov_b32_e32 v237, v3
	v_pk_fma_f32 v[2:3], v[82:83], s[20:21], v[138:139] neg_lo:[0,0,1] neg_hi:[0,0,1]
	v_mov_b32_e32 v21, v1
	v_mov_b32_e32 v17, v3
	v_pk_fma_f32 v[2:3], v[36:37], s[18:19], v[230:231] neg_lo:[0,0,1] neg_hi:[0,0,1]
	v_pk_add_f32 v[0:1], v[38:39], v[34:35]
	v_mov_b32_e32 v235, v3
	v_pk_fma_f32 v[2:3], v[42:43], s[30:31], v[58:59] neg_lo:[0,0,1] neg_hi:[0,0,1]
	v_pk_fma_f32 v[4:5], v[48:49], s[26:27], v[238:239] neg_lo:[0,0,1] neg_hi:[0,0,1]
	v_mov_b32_e32 v241, v3
	v_pk_add_f32 v[2:3], v[38:39], v[234:235]
	v_pk_add_f32 v[0:1], v[20:21], v[0:1]
	;; [unrolled: 1-line block ×3, first 2 shown]
	v_mov_b32_e32 v245, v5
	v_pk_fma_f32 v[4:5], v[56:57], s[24:25], v[242:243] neg_lo:[0,0,1] neg_hi:[0,0,1]
	v_pk_add_f32 v[0:1], v[24:25], v[0:1]
	v_pk_add_f32 v[2:3], v[244:245], v[2:3]
	v_mov_b32_e32 v249, v5
	v_pk_fma_f32 v[4:5], v[62:63], s[40:41], v[246:247] neg_lo:[0,0,1] neg_hi:[0,0,1]
	v_pk_add_f32 v[0:1], v[28:29], v[0:1]
	v_pk_add_f32 v[2:3], v[248:249], v[2:3]
	;; [unrolled: 4-line block ×5, first 2 shown]
	v_mov_b32_e32 v93, v5
	v_pk_add_f32 v[0:1], v[16:17], v[0:1]
	v_pk_add_f32 v[2:3], v[92:93], v[2:3]
	ds_write2_b64 v170, v[0:1], v[2:3] offset0:10 offset1:11
	v_pk_fma_f32 v[2:3], v[48:49], s[38:39], v[208:209] neg_lo:[0,0,1] neg_hi:[0,0,1]
	v_accvgpr_read_b32 v239, a45
	v_mov_b32_e32 v207, v3
	v_pk_fma_f32 v[2:3], v[56:57], s[16:17], v[212:213] neg_lo:[0,0,1] neg_hi:[0,0,1]
	v_accvgpr_read_b32 v30, a70
	v_mov_b32_e32 v211, v3
	;; [unrolled: 3-line block ×4, first 2 shown]
	v_pk_fma_f32 v[2:3], v[76:77], s[26:27], v[224:225] neg_lo:[0,0,1] neg_hi:[0,0,1]
	v_pk_add_f32 v[230:231], v[30:31], v[238:239]
	v_pk_add_f32 v[0:1], v[238:239], v[30:31] neg_lo:[0,1] neg_hi:[0,1]
	v_mov_b32_e32 v223, v3
	v_pk_fma_f32 v[2:3], v[82:83], s[18:19], v[228:229] neg_lo:[0,0,1] neg_hi:[0,0,1]
	v_mov_b32_e32 v34, v1
	v_mov_b32_e32 v35, v231
	;; [unrolled: 1-line block ×3, first 2 shown]
	v_pk_fma_f32 v[0:1], v[36:37], s[20:21], v[200:201] neg_lo:[0,0,1] neg_hi:[0,0,1]
	v_mov_b32_e32 v227, v3
	v_pk_fma_f32 v[2:3], v[36:37], s[14:15], v[166:167] neg_lo:[0,0,1] neg_hi:[0,0,1]
	v_mov_b32_e32 v199, v1
	;; [unrolled: 2-line block ×4, first 2 shown]
	v_pk_add_f32 v[0:1], v[38:39], v[198:199]
	v_mov_b32_e32 v169, v3
	v_pk_add_f32 v[2:3], v[38:39], v[164:165]
	v_pk_fma_f32 v[4:5], v[48:49], s[30:31], v[174:175] neg_lo:[0,0,1] neg_hi:[0,0,1]
	v_pk_add_f32 v[0:1], v[202:203], v[0:1]
	v_pk_add_f32 v[2:3], v[168:169], v[2:3]
	v_mov_b32_e32 v173, v5
	v_pk_fma_f32 v[4:5], v[56:57], s[36:37], v[178:179] neg_lo:[0,0,1] neg_hi:[0,0,1]
	v_pk_add_f32 v[0:1], v[206:207], v[0:1]
	v_pk_add_f32 v[2:3], v[172:173], v[2:3]
	v_mov_b32_e32 v177, v5
	;; [unrolled: 4-line block ×5, first 2 shown]
	v_pk_fma_f32 v[4:5], v[82:83], s[38:39], v[196:197] neg_lo:[0,0,1] neg_hi:[0,0,1]
	v_accvgpr_read_b32 v26, a66
	v_accvgpr_read_b32 v215, a75
	v_pk_add_f32 v[0:1], v[222:223], v[0:1]
	v_pk_add_f32 v[2:3], v[188:189], v[2:3]
	v_mov_b32_e32 v195, v5
	v_accvgpr_read_b32 v27, a67
	v_accvgpr_read_b32 v214, a74
	v_pk_add_f32 v[0:1], v[226:227], v[0:1]
	v_pk_add_f32 v[2:3], v[194:195], v[2:3]
	v_pk_mul_f32 v[182:183], v[230:231], s[56:57]
	v_pk_add_f32 v[206:207], v[26:27], v[214:215] neg_lo:[0,1] neg_hi:[0,1]
	ds_write2_b64 v170, v[0:1], v[2:3] offset0:12 offset1:13
	v_pk_fma_f32 v[188:189], v[34:35], s[26:27], v[182:183]
	v_pk_fma_f32 v[0:1], v[34:35], s[26:27], v[182:183] neg_lo:[0,0,1] neg_hi:[0,0,1]
	s_mov_b32 s56, s9
	v_pk_add_f32 v[196:197], v[214:215], v[26:27]
	v_pk_mul_f32 v[2:3], v[206:207], s[8:9] op_sel_hi:[1,0]
	v_accvgpr_read_b32 v237, a43
	v_accvgpr_read_b32 v236, a42
	v_mov_b32_e32 v0, v188
	v_accvgpr_read_b32 v28, a68
	v_accvgpr_read_b32 v29, a69
	;; [unrolled: 1-line block ×4, first 2 shown]
	v_pk_fma_f32 v[174:175], v[196:197], s[56:57], v[2:3] op_sel:[0,0,1] op_sel_hi:[1,0,0]
	v_pk_fma_f32 v[176:177], v[196:197], s[56:57], v[2:3] op_sel:[0,0,1] op_sel_hi:[1,0,0] neg_lo:[0,0,1] neg_hi:[0,0,1]
	v_pk_add_f32 v[0:1], v[0:1], v[236:237]
	v_mov_b32_e32 v2, v174
	v_mov_b32_e32 v3, v177
	v_pk_add_f32 v[128:129], v[28:29], v[212:213] neg_lo:[0,1] neg_hi:[0,1]
	v_pk_add_f32 v[0:1], v[2:3], v[0:1]
	s_mov_b32 s56, s17
	v_pk_add_f32 v[118:119], v[212:213], v[28:29]
	v_pk_mul_f32 v[2:3], v[128:129], s[16:17] op_sel_hi:[1,0]
	v_accvgpr_read_b32 v18, a58
	v_accvgpr_read_b32 v22, a62
	v_pk_fma_f32 v[178:179], v[118:119], s[56:57], v[2:3] op_sel:[0,0,1] op_sel_hi:[1,0,0]
	v_pk_fma_f32 v[180:181], v[118:119], s[56:57], v[2:3] op_sel:[0,0,1] op_sel_hi:[1,0,0] neg_lo:[0,0,1] neg_hi:[0,0,1]
	v_accvgpr_read_b32 v19, a59
	v_accvgpr_read_b32 v24, a64
	;; [unrolled: 1-line block ×3, first 2 shown]
	v_mov_b32_e32 v2, v178
	v_mov_b32_e32 v3, v181
	v_pk_add_f32 v[164:165], v[18:19], v[24:25] neg_lo:[0,1] neg_hi:[0,1]
	v_pk_add_f32 v[0:1], v[2:3], v[0:1]
	s_mov_b32 s56, s15
	v_pk_add_f32 v[120:121], v[24:25], v[18:19]
	v_pk_mul_f32 v[2:3], v[164:165], s[14:15] op_sel_hi:[1,0]
	v_accvgpr_read_b32 v20, a60
	v_accvgpr_read_b32 v21, a61
	;; [unrolled: 1-line block ×3, first 2 shown]
	v_pk_fma_f32 v[184:185], v[120:121], s[56:57], v[2:3] op_sel:[0,0,1] op_sel_hi:[1,0,0]
	v_pk_fma_f32 v[186:187], v[120:121], s[56:57], v[2:3] op_sel:[0,0,1] op_sel_hi:[1,0,0] neg_lo:[0,0,1] neg_hi:[0,0,1]
	v_mov_b32_e32 v2, v184
	v_mov_b32_e32 v3, v187
	v_pk_add_f32 v[166:167], v[20:21], v[22:23] neg_lo:[0,1] neg_hi:[0,1]
	v_pk_add_f32 v[0:1], v[2:3], v[0:1]
	s_mov_b32 s56, s21
	v_pk_add_f32 v[122:123], v[22:23], v[20:21]
	v_pk_mul_f32 v[2:3], v[166:167], s[20:21] op_sel_hi:[1,0]
	v_accvgpr_read_b32 v10, a50
	v_accvgpr_read_b32 v14, a54
	v_pk_fma_f32 v[190:191], v[122:123], s[56:57], v[2:3] op_sel:[0,0,1] op_sel_hi:[1,0,0]
	v_pk_fma_f32 v[194:195], v[122:123], s[56:57], v[2:3] op_sel:[0,0,1] op_sel_hi:[1,0,0] neg_lo:[0,0,1] neg_hi:[0,0,1]
	v_accvgpr_read_b32 v11, a51
	v_accvgpr_read_b32 v16, a56
	;; [unrolled: 1-line block ×3, first 2 shown]
	v_mov_b32_e32 v2, v190
	v_mov_b32_e32 v3, v195
	v_pk_add_f32 v[168:169], v[10:11], v[16:17] neg_lo:[0,1] neg_hi:[0,1]
	v_pk_add_f32 v[0:1], v[2:3], v[0:1]
	s_mov_b32 s56, s19
	v_pk_add_f32 v[124:125], v[16:17], v[10:11]
	v_pk_mul_f32 v[2:3], v[168:169], s[18:19] op_sel_hi:[1,0]
	v_accvgpr_read_b32 v12, a52
	v_accvgpr_read_b32 v13, a53
	;; [unrolled: 1-line block ×3, first 2 shown]
	v_pk_fma_f32 v[198:199], v[124:125], s[56:57], v[2:3] op_sel:[0,0,1] op_sel_hi:[1,0,0]
	v_pk_fma_f32 v[200:201], v[124:125], s[56:57], v[2:3] op_sel:[0,0,1] op_sel_hi:[1,0,0] neg_lo:[0,0,1] neg_hi:[0,0,1]
	v_mov_b32_e32 v2, v198
	v_mov_b32_e32 v3, v201
	v_pk_add_f32 v[138:139], v[12:13], v[14:15] neg_lo:[0,1] neg_hi:[0,1]
	v_pk_add_f32 v[0:1], v[2:3], v[0:1]
	s_mov_b32 s56, s25
	v_pk_add_f32 v[126:127], v[14:15], v[12:13]
	v_pk_mul_f32 v[2:3], v[138:139], s[24:25] op_sel_hi:[1,0]
	v_accvgpr_read_b32 v6, a46
	v_pk_fma_f32 v[202:203], v[126:127], s[56:57], v[2:3] op_sel:[0,0,1] op_sel_hi:[1,0,0]
	v_pk_fma_f32 v[204:205], v[126:127], s[56:57], v[2:3] op_sel:[0,0,1] op_sel_hi:[1,0,0] neg_lo:[0,0,1] neg_hi:[0,0,1]
	v_accvgpr_read_b32 v7, a47
	v_accvgpr_read_b32 v8, a48
	;; [unrolled: 1-line block ×3, first 2 shown]
	v_mov_b32_e32 v2, v202
	v_mov_b32_e32 v3, v205
	v_pk_add_f32 v[172:173], v[6:7], v[8:9] neg_lo:[0,1] neg_hi:[0,1]
	v_pk_add_f32 v[0:1], v[2:3], v[0:1]
	s_mov_b32 s56, s23
	v_pk_add_f32 v[130:131], v[8:9], v[6:7]
	v_pk_mul_f32 v[2:3], v[172:173], s[22:23] op_sel_hi:[1,0]
	v_pk_fma_f32 v[4:5], v[48:49], s[18:19], v[96:97] neg_lo:[0,0,1] neg_hi:[0,0,1]
	v_pk_fma_f32 v[208:209], v[130:131], s[56:57], v[2:3] op_sel:[0,0,1] op_sel_hi:[1,0,0]
	v_pk_fma_f32 v[210:211], v[130:131], s[56:57], v[2:3] op_sel:[0,0,1] op_sel_hi:[1,0,0] neg_lo:[0,0,1] neg_hi:[0,0,1]
	v_mov_b32_e32 v2, v208
	v_mov_b32_e32 v3, v211
	v_pk_add_f32 v[0:1], v[2:3], v[0:1]
	v_pk_fma_f32 v[2:3], v[48:49], s[54:55], v[142:143] neg_lo:[0,0,1] neg_hi:[0,0,1]
	v_accvgpr_write_b32 a129, v1
	v_mov_b32_e32 v141, v3
	v_pk_fma_f32 v[2:3], v[56:57], s[30:31], v[146:147] neg_lo:[0,0,1] neg_hi:[0,0,1]
	v_accvgpr_write_b32 a128, v0
	v_mov_b32_e32 v145, v3
	v_pk_fma_f32 v[2:3], v[62:63], s[38:39], v[150:151] neg_lo:[0,0,1] neg_hi:[0,0,1]
	v_pk_fma_f32 v[0:1], v[36:37], s[16:17], v[134:135] neg_lo:[0,0,1] neg_hi:[0,0,1]
	v_mov_b32_e32 v149, v3
	v_pk_fma_f32 v[2:3], v[70:71], s[26:27], v[154:155] neg_lo:[0,0,1] neg_hi:[0,0,1]
	v_mov_b32_e32 v133, v1
	v_mov_b32_e32 v153, v3
	v_pk_fma_f32 v[2:3], v[76:77], s[14:15], v[158:159] neg_lo:[0,0,1] neg_hi:[0,0,1]
	v_pk_fma_f32 v[0:1], v[42:43], s[18:19], v[80:81] neg_lo:[0,0,1] neg_hi:[0,0,1]
	v_mov_b32_e32 v157, v3
	v_pk_fma_f32 v[2:3], v[82:83], s[24:25], v[162:163] neg_lo:[0,0,1] neg_hi:[0,0,1]
	v_mov_b32_e32 v137, v1
	v_mov_b32_e32 v161, v3
	v_pk_fma_f32 v[2:3], v[36:37], s[8:9], v[88:89] neg_lo:[0,0,1] neg_hi:[0,0,1]
	v_pk_add_f32 v[0:1], v[38:39], v[132:133]
	v_mov_b32_e32 v67, v3
	v_pk_fma_f32 v[2:3], v[42:43], s[14:15], v[86:87] neg_lo:[0,0,1] neg_hi:[0,0,1]
	v_pk_add_f32 v[0:1], v[136:137], v[0:1]
	v_mov_b32_e32 v91, v3
	v_pk_add_f32 v[2:3], v[38:39], v[66:67]
	v_mov_b32_e32 v95, v5
	v_pk_add_f32 v[2:3], v[90:91], v[2:3]
	v_pk_fma_f32 v[4:5], v[56:57], s[22:23], v[100:101] neg_lo:[0,0,1] neg_hi:[0,0,1]
	v_pk_add_f32 v[0:1], v[140:141], v[0:1]
	v_pk_add_f32 v[2:3], v[94:95], v[2:3]
	v_mov_b32_e32 v99, v5
	v_pk_fma_f32 v[4:5], v[62:63], s[28:29], v[104:105] neg_lo:[0,0,1] neg_hi:[0,0,1]
	v_pk_add_f32 v[0:1], v[144:145], v[0:1]
	v_pk_add_f32 v[2:3], v[98:99], v[2:3]
	v_mov_b32_e32 v103, v5
	;; [unrolled: 4-line block ×5, first 2 shown]
	v_pk_add_f32 v[0:1], v[160:161], v[0:1]
	v_pk_add_f32 v[2:3], v[114:115], v[2:3]
	ds_write2_b64 v170, v[0:1], v[2:3] offset0:14 offset1:15
	v_accvgpr_read_b32 v0, a78
	v_accvgpr_read_b32 v1, a79
	;; [unrolled: 1-line block ×3, first 2 shown]
	v_pk_fma_f32 v[0:1], v[36:37], s[26:27], v[0:1] neg_lo:[0,0,1] neg_hi:[0,0,1]
	v_accvgpr_read_b32 v3, a83
	v_accvgpr_read_b32 v0, a76
	v_pk_fma_f32 v[2:3], v[42:43], s[8:9], v[2:3] neg_lo:[0,0,1] neg_hi:[0,0,1]
	v_pk_add_f32 v[0:1], v[38:39], v[0:1]
	v_accvgpr_read_b32 v2, a80
	v_pk_add_f32 v[0:1], v[2:3], v[0:1]
	v_accvgpr_read_b32 v2, a86
	v_accvgpr_read_b32 v3, a87
	v_pk_fma_f32 v[2:3], v[48:49], s[16:17], v[2:3] neg_lo:[0,0,1] neg_hi:[0,0,1]
	v_accvgpr_read_b32 v47, a3
	v_accvgpr_read_b32 v2, a84
	v_pk_add_f32 v[0:1], v[2:3], v[0:1]
	v_accvgpr_read_b32 v2, a90
	v_accvgpr_read_b32 v3, a91
	v_pk_fma_f32 v[2:3], v[56:57], s[14:15], v[2:3] neg_lo:[0,0,1] neg_hi:[0,0,1]
	v_accvgpr_read_b32 v46, a2
	v_accvgpr_read_b32 v2, a88
	v_pk_add_f32 v[0:1], v[2:3], v[0:1]
	v_accvgpr_read_b32 v2, a92
	v_accvgpr_read_b32 v3, a93
	v_pk_fma_f32 v[2:3], v[62:63], s[20:21], v[2:3] neg_lo:[0,0,1] neg_hi:[0,0,1]
	v_lshl_add_u64 v[54:55], v[46:47], 0, 51
	v_mov_b32_e32 v69, v3
	v_accvgpr_read_b32 v2, a94
	v_accvgpr_read_b32 v3, a95
	v_pk_fma_f32 v[2:3], v[70:71], s[18:19], v[2:3] neg_lo:[0,0,1] neg_hi:[0,0,1]
	v_pk_add_f32 v[0:1], v[68:69], v[0:1]
	v_mov_b32_e32 v73, v3
	v_accvgpr_read_b32 v2, a96
	v_accvgpr_read_b32 v3, a97
	v_pk_fma_f32 v[2:3], v[76:77], s[24:25], v[2:3] neg_lo:[0,0,1] neg_hi:[0,0,1]
	v_pk_add_f32 v[0:1], v[72:73], v[0:1]
	v_mov_b32_e32 v79, v3
	v_accvgpr_read_b32 v2, a98
	v_accvgpr_read_b32 v3, a99
	v_pk_fma_f32 v[2:3], v[82:83], s[22:23], v[2:3] neg_lo:[0,0,1] neg_hi:[0,0,1]
	v_pk_add_f32 v[0:1], v[78:79], v[0:1]
	v_mov_b32_e32 v85, v3
	v_pk_add_f32 v[0:1], v[84:85], v[0:1]
	ds_write_b64 v170, v[0:1] offset:128
	v_mul_u32_u24_e32 v0, 17, v54
	v_mov_b32_e32 v234, v170
	v_accvgpr_write_b32 a105, v0
	s_and_saveexec_b64 s[56:57], s[2:3]
	s_cbranch_execz .LBB0_7
; %bb.6:
	v_pk_add_f32 v[2:3], v[238:239], v[236:237]
	v_pk_mul_f32 v[0:1], v[34:35], s[26:27]
	v_pk_add_f32 v[2:3], v[26:27], v[2:3]
	v_pk_add_f32 v[0:1], v[182:183], v[0:1] neg_lo:[0,1] neg_hi:[0,1]
	v_pk_add_f32 v[2:3], v[28:29], v[2:3]
	v_mov_b32_e32 v1, v189
	v_pk_add_f32 v[2:3], v[18:19], v[2:3]
	v_pk_add_f32 v[0:1], v[0:1], v[236:237]
	v_pk_add_f32 v[2:3], v[20:21], v[2:3]
	v_mov_b32_e32 v177, v175
	v_pk_add_f32 v[2:3], v[10:11], v[2:3]
	v_pk_add_f32 v[0:1], v[176:177], v[0:1]
	;; [unrolled: 4-line block ×6, first 2 shown]
	v_mov_b32_e32 v205, v203
	v_accvgpr_read_b32 v4, a105
	v_pk_add_f32 v[2:3], v[214:215], v[2:3]
	v_pk_add_f32 v[0:1], v[204:205], v[0:1]
	v_mov_b32_e32 v211, v209
	v_mov_b32_e32 v33, v197
	v_mov_b32_e32 v197, v206
	v_pk_mul_f32 v[38:39], v[230:231], s[44:45]
	v_lshlrev_b32_e32 v55, 3, v4
	v_pk_add_f32 v[2:3], v[30:31], v[2:3]
	v_pk_add_f32 v[0:1], v[210:211], v[0:1]
	v_mov_b32_e32 v92, v207
	v_mov_b32_e32 v32, v207
	v_pk_mul_f32 v[36:37], v[196:197], s[48:49]
	ds_write2_b64 v55, v[2:3], v[0:1] offset1:1
	v_pk_fma_f32 v[0:1], v[34:35], s[8:9], v[38:39] neg_lo:[1,0,0] neg_hi:[1,0,0]
	v_pk_fma_f32 v[2:3], v[34:35], s[8:9], v[38:39]
	v_pk_fma_f32 v[6:7], v[92:93], s[14:15], v[36:37] neg_lo:[1,0,0] neg_hi:[1,0,0]
	v_mov_b32_e32 v1, v3
	v_pk_fma_f32 v[4:5], v[32:33], s[14:15], v[36:37]
	v_pk_add_f32 v[0:1], v[0:1], v[236:237]
	v_mov_b32_e32 v7, v5
	s_mov_b32 s44, s19
	v_pk_mul_f32 v[8:9], v[128:129], s[18:19] op_sel_hi:[1,0]
	v_pk_add_f32 v[0:1], v[6:7], v[0:1]
	v_pk_fma_f32 v[6:7], v[118:119], s[44:45], v[8:9] op_sel:[0,0,1] op_sel_hi:[1,0,0] neg_lo:[0,0,1] neg_hi:[0,0,1]
	v_pk_fma_f32 v[8:9], v[118:119], s[44:45], v[8:9] op_sel:[0,0,1] op_sel_hi:[1,0,0]
	v_pk_mul_f32 v[56:57], v[230:231], s[52:53]
	v_pk_mul_f32 v[40:41], v[196:197], s[52:53]
	v_mov_b32_e32 v10, v6
	v_mov_b32_e32 v11, v9
	s_mov_b32 s52, s23
	v_pk_mul_f32 v[12:13], v[164:165], s[22:23] op_sel_hi:[1,0]
	v_pk_add_f32 v[0:1], v[10:11], v[0:1]
	v_pk_fma_f32 v[10:11], v[120:121], s[52:53], v[12:13] op_sel:[0,0,1] op_sel_hi:[1,0,0] neg_lo:[0,0,1] neg_hi:[0,0,1]
	v_pk_fma_f32 v[12:13], v[120:121], s[52:53], v[12:13] op_sel:[0,0,1] op_sel_hi:[1,0,0]
	v_pk_mul_f32 v[46:47], v[230:231], s[48:49]
	v_mov_b32_e32 v14, v10
	v_mov_b32_e32 v15, v13
	s_mov_b32 s48, s25
	v_pk_mul_f32 v[16:17], v[166:167], s[28:29] op_sel_hi:[1,0]
	v_pk_add_f32 v[0:1], v[14:15], v[0:1]
	v_pk_fma_f32 v[14:15], v[122:123], s[48:49], v[16:17] op_sel:[0,0,1] op_sel_hi:[1,0,0] neg_lo:[0,0,1] neg_hi:[0,0,1]
	v_pk_fma_f32 v[16:17], v[122:123], s[48:49], v[16:17] op_sel:[0,0,1] op_sel_hi:[1,0,0]
	;; [unrolled: 8-line block ×4, first 2 shown]
	v_pk_mul_f32 v[90:91], v[230:231], s[60:61]
	v_pk_mul_f32 v[44:45], v[196:197], s[60:61]
	v_mov_b32_e32 v26, v22
	v_mov_b32_e32 v27, v25
	s_mov_b32 s60, s27
	v_pk_mul_f32 v[28:29], v[172:173], s[36:37] op_sel_hi:[1,0]
	v_pk_add_f32 v[0:1], v[26:27], v[0:1]
	v_pk_fma_f32 v[26:27], v[130:131], s[60:61], v[28:29] op_sel:[0,0,1] op_sel_hi:[1,0,0] neg_lo:[0,0,1] neg_hi:[0,0,1]
	v_pk_fma_f32 v[28:29], v[130:131], s[60:61], v[28:29] op_sel:[0,0,1] op_sel_hi:[1,0,0]
	v_mov_b32_e32 v30, v26
	v_mov_b32_e32 v31, v29
	v_pk_add_f32 v[0:1], v[30:31], v[0:1]
	v_pk_fma_f32 v[62:63], v[34:35], s[16:17], v[42:43] neg_lo:[1,0,0] neg_hi:[1,0,0]
	v_pk_fma_f32 v[30:31], v[34:35], s[16:17], v[42:43]
	v_pk_fma_f32 v[66:67], v[92:93], s[18:19], v[40:41] neg_lo:[1,0,0] neg_hi:[1,0,0]
	v_mov_b32_e32 v63, v31
	v_pk_add_f32 v[64:65], v[62:63], v[236:237]
	v_pk_fma_f32 v[62:63], v[32:33], s[18:19], v[40:41]
	v_pk_mul_f32 v[58:59], v[230:231], s[58:59]
	v_mov_b32_e32 v67, v63
	v_pk_add_f32 v[68:69], v[66:67], v[64:65]
	v_pk_mul_f32 v[66:67], v[128:129], s[54:55] op_sel_hi:[1,0]
	s_mov_b32 s58, s9
	v_pk_fma_f32 v[64:65], v[118:119], s[52:53], v[66:67] op_sel:[0,0,1] op_sel_hi:[1,0,0] neg_lo:[0,0,1] neg_hi:[0,0,1]
	v_pk_fma_f32 v[66:67], v[118:119], s[52:53], v[66:67] op_sel:[0,0,1] op_sel_hi:[1,0,0]
	v_mov_b32_e32 v70, v64
	v_mov_b32_e32 v71, v67
	v_pk_add_f32 v[72:73], v[70:71], v[68:69]
	v_pk_mul_f32 v[70:71], v[164:165], s[30:31] op_sel_hi:[1,0]
	s_mov_b32 s54, s15
	v_pk_fma_f32 v[68:69], v[120:121], s[46:47], v[70:71] op_sel:[0,0,1] op_sel_hi:[1,0,0] neg_lo:[0,0,1] neg_hi:[0,0,1]
	v_pk_fma_f32 v[70:71], v[120:121], s[46:47], v[70:71] op_sel:[0,0,1] op_sel_hi:[1,0,0]
	v_mov_b32_e32 v74, v68
	v_mov_b32_e32 v75, v71
	v_pk_add_f32 v[76:77], v[74:75], v[72:73]
	v_pk_mul_f32 v[74:75], v[166:167], s[38:39] op_sel_hi:[1,0]
	v_pk_fma_f32 v[98:99], v[92:93], s[22:23], v[44:45] neg_lo:[1,0,0] neg_hi:[1,0,0]
	v_pk_fma_f32 v[72:73], v[122:123], s[58:59], v[74:75] op_sel:[0,0,1] op_sel_hi:[1,0,0] neg_lo:[0,0,1] neg_hi:[0,0,1]
	v_pk_fma_f32 v[74:75], v[122:123], s[58:59], v[74:75] op_sel:[0,0,1] op_sel_hi:[1,0,0]
	v_mov_b32_e32 v78, v72
	v_mov_b32_e32 v79, v75
	v_pk_add_f32 v[80:81], v[78:79], v[76:77]
	v_pk_mul_f32 v[78:79], v[168:169], s[26:27] op_sel_hi:[1,0]
	v_pk_mul_f32 v[100:101], v[128:129], s[30:31] op_sel_hi:[1,0]
	v_pk_fma_f32 v[76:77], v[124:125], s[60:61], v[78:79] op_sel:[0,0,1] op_sel_hi:[1,0,0] neg_lo:[0,0,1] neg_hi:[0,0,1]
	v_pk_fma_f32 v[78:79], v[124:125], s[60:61], v[78:79] op_sel:[0,0,1] op_sel_hi:[1,0,0]
	v_mov_b32_e32 v82, v76
	v_mov_b32_e32 v83, v79
	v_pk_add_f32 v[84:85], v[82:83], v[80:81]
	v_pk_mul_f32 v[82:83], v[138:139], s[14:15] op_sel_hi:[1,0]
	v_pk_mul_f32 v[104:105], v[164:165], s[36:37] op_sel_hi:[1,0]
	;; [unrolled: 7-line block ×3, first 2 shown]
	v_pk_fma_f32 v[84:85], v[130:131], s[48:49], v[86:87] op_sel:[0,0,1] op_sel_hi:[1,0,0] neg_lo:[0,0,1] neg_hi:[0,0,1]
	v_pk_fma_f32 v[86:87], v[130:131], s[48:49], v[86:87] op_sel:[0,0,1] op_sel_hi:[1,0,0]
	v_mov_b32_e32 v96, v84
	v_mov_b32_e32 v97, v87
	v_pk_add_f32 v[94:95], v[96:97], v[94:95]
	ds_write2_b64 v55, v[0:1], v[94:95] offset0:2 offset1:3
	v_pk_fma_f32 v[0:1], v[34:35], s[14:15], v[46:47] neg_lo:[1,0,0] neg_hi:[1,0,0]
	v_pk_fma_f32 v[94:95], v[34:35], s[14:15], v[46:47]
	v_pk_fma_f32 v[96:97], v[32:33], s[22:23], v[44:45]
	v_mov_b32_e32 v1, v95
	v_pk_add_f32 v[0:1], v[0:1], v[236:237]
	v_mov_b32_e32 v99, v97
	v_pk_add_f32 v[0:1], v[98:99], v[0:1]
	v_pk_fma_f32 v[98:99], v[118:119], s[46:47], v[100:101] op_sel:[0,0,1] op_sel_hi:[1,0,0] neg_lo:[0,0,1] neg_hi:[0,0,1]
	v_pk_fma_f32 v[100:101], v[118:119], s[46:47], v[100:101] op_sel:[0,0,1] op_sel_hi:[1,0,0]
	v_mov_b32_e32 v102, v98
	v_mov_b32_e32 v103, v101
	v_pk_add_f32 v[0:1], v[102:103], v[0:1]
	v_pk_fma_f32 v[102:103], v[120:121], s[60:61], v[104:105] op_sel:[0,0,1] op_sel_hi:[1,0,0] neg_lo:[0,0,1] neg_hi:[0,0,1]
	v_pk_fma_f32 v[104:105], v[120:121], s[60:61], v[104:105] op_sel:[0,0,1] op_sel_hi:[1,0,0]
	v_mov_b32_e32 v106, v102
	;; [unrolled: 5-line block ×3, first 2 shown]
	v_mov_b32_e32 v111, v109
	v_pk_mul_f32 v[112:113], v[168:169], s[24:25] op_sel_hi:[1,0]
	v_pk_add_f32 v[0:1], v[110:111], v[0:1]
	v_pk_fma_f32 v[110:111], v[124:125], s[48:49], v[112:113] op_sel:[0,0,1] op_sel_hi:[1,0,0] neg_lo:[0,0,1] neg_hi:[0,0,1]
	v_pk_fma_f32 v[112:113], v[124:125], s[48:49], v[112:113] op_sel:[0,0,1] op_sel_hi:[1,0,0]
	v_mov_b32_e32 v114, v110
	v_mov_b32_e32 v115, v113
	v_pk_mul_f32 v[116:117], v[138:139], s[42:43] op_sel_hi:[1,0]
	v_pk_add_f32 v[0:1], v[114:115], v[0:1]
	v_pk_fma_f32 v[114:115], v[126:127], s[44:45], v[116:117] op_sel:[0,0,1] op_sel_hi:[1,0,0] neg_lo:[0,0,1] neg_hi:[0,0,1]
	v_pk_fma_f32 v[116:117], v[126:127], s[44:45], v[116:117] op_sel:[0,0,1] op_sel_hi:[1,0,0]
	v_mov_b32_e32 v132, v114
	;; [unrolled: 6-line block ×3, first 2 shown]
	v_mov_b32_e32 v137, v135
	v_pk_add_f32 v[170:171], v[136:137], v[0:1]
	v_pk_fma_f32 v[0:1], v[34:35], s[20:21], v[50:51] neg_lo:[1,0,0] neg_hi:[1,0,0]
	v_pk_fma_f32 v[136:137], v[34:35], s[20:21], v[50:51]
	v_pk_mul_f32 v[48:49], v[196:197], s[62:63]
	v_mov_b32_e32 v1, v137
	v_pk_add_f32 v[140:141], v[0:1], v[236:237]
	v_pk_fma_f32 v[142:143], v[92:93], s[28:29], v[48:49] neg_lo:[1,0,0] neg_hi:[1,0,0]
	v_pk_fma_f32 v[0:1], v[32:33], s[28:29], v[48:49]
	v_pk_mul_f32 v[52:53], v[196:197], s[64:65]
	v_mov_b32_e32 v143, v1
	v_pk_add_f32 v[144:145], v[142:143], v[140:141]
	v_pk_mul_f32 v[142:143], v[128:129], s[38:39] op_sel_hi:[1,0]
	v_pk_fma_f32 v[178:179], v[32:33], s[30:31], v[52:53]
	v_pk_fma_f32 v[140:141], v[118:119], s[58:59], v[142:143] op_sel:[0,0,1] op_sel_hi:[1,0,0] neg_lo:[0,0,1] neg_hi:[0,0,1]
	v_pk_fma_f32 v[142:143], v[118:119], s[58:59], v[142:143] op_sel:[0,0,1] op_sel_hi:[1,0,0]
	v_mov_b32_e32 v146, v140
	v_mov_b32_e32 v147, v143
	v_pk_add_f32 v[148:149], v[146:147], v[144:145]
	v_pk_mul_f32 v[146:147], v[164:165], s[16:17] op_sel_hi:[1,0]
	v_pk_mul_f32 v[60:61], v[196:197], s[66:67]
	v_pk_fma_f32 v[144:145], v[120:121], s[50:51], v[146:147] op_sel:[0,0,1] op_sel_hi:[1,0,0] neg_lo:[0,0,1] neg_hi:[0,0,1]
	v_pk_fma_f32 v[146:147], v[120:121], s[50:51], v[146:147] op_sel:[0,0,1] op_sel_hi:[1,0,0]
	v_mov_b32_e32 v150, v144
	v_mov_b32_e32 v151, v147
	v_pk_add_f32 v[152:153], v[150:151], v[148:149]
	v_pk_mul_f32 v[150:151], v[166:167], s[22:23] op_sel_hi:[1,0]
	v_pk_mul_f32 v[88:89], v[196:197], s[68:69]
	v_pk_fma_f32 v[148:149], v[122:123], s[52:53], v[150:151] op_sel:[0,0,1] op_sel_hi:[1,0,0] neg_lo:[0,0,1] neg_hi:[0,0,1]
	v_pk_fma_f32 v[150:151], v[122:123], s[52:53], v[150:151] op_sel:[0,0,1] op_sel_hi:[1,0,0]
	v_mov_b32_e32 v154, v148
	v_mov_b32_e32 v155, v151
	v_pk_add_f32 v[156:157], v[154:155], v[152:153]
	v_pk_mul_f32 v[154:155], v[168:169], s[40:41] op_sel_hi:[1,0]
	v_pk_fma_f32 v[214:215], v[34:35], s[24:25], v[58:59] neg_lo:[1,0,0] neg_hi:[1,0,0]
	v_pk_fma_f32 v[152:153], v[124:125], s[54:55], v[154:155] op_sel:[0,0,1] op_sel_hi:[1,0,0] neg_lo:[0,0,1] neg_hi:[0,0,1]
	v_pk_fma_f32 v[154:155], v[124:125], s[54:55], v[154:155] op_sel:[0,0,1] op_sel_hi:[1,0,0]
	v_mov_b32_e32 v158, v152
	v_mov_b32_e32 v159, v155
	v_pk_add_f32 v[160:161], v[158:159], v[156:157]
	v_pk_mul_f32 v[158:159], v[138:139], s[26:27] op_sel_hi:[1,0]
	v_pk_fma_f32 v[216:217], v[34:35], s[24:25], v[58:59]
	v_pk_fma_f32 v[156:157], v[126:127], s[60:61], v[158:159] op_sel:[0,0,1] op_sel_hi:[1,0,0] neg_lo:[0,0,1] neg_hi:[0,0,1]
	v_pk_fma_f32 v[158:159], v[126:127], s[60:61], v[158:159] op_sel:[0,0,1] op_sel_hi:[1,0,0]
	v_mov_b32_e32 v162, v156
	v_mov_b32_e32 v163, v159
	v_pk_add_f32 v[174:175], v[162:163], v[160:161]
	v_pk_mul_f32 v[162:163], v[172:173], s[18:19] op_sel_hi:[1,0]
	v_mov_b32_e32 v215, v217
	v_pk_fma_f32 v[160:161], v[130:131], s[44:45], v[162:163] op_sel:[0,0,1] op_sel_hi:[1,0,0] neg_lo:[0,0,1] neg_hi:[0,0,1]
	v_pk_fma_f32 v[162:163], v[130:131], s[44:45], v[162:163] op_sel:[0,0,1] op_sel_hi:[1,0,0]
	v_mov_b32_e32 v176, v160
	v_mov_b32_e32 v177, v163
	v_pk_add_f32 v[174:175], v[176:177], v[174:175]
	ds_write2_b64 v55, v[170:171], v[174:175] offset0:4 offset1:5
	v_pk_fma_f32 v[170:171], v[34:35], s[18:19], v[56:57] neg_lo:[1,0,0] neg_hi:[1,0,0]
	v_pk_fma_f32 v[174:175], v[34:35], s[18:19], v[56:57]
	v_pk_fma_f32 v[176:177], v[92:93], s[30:31], v[52:53] neg_lo:[1,0,0] neg_hi:[1,0,0]
	v_mov_b32_e32 v171, v175
	v_pk_add_f32 v[170:171], v[170:171], v[236:237]
	v_mov_b32_e32 v177, v179
	v_pk_add_f32 v[170:171], v[176:177], v[170:171]
	v_pk_mul_f32 v[176:177], v[128:129], s[26:27] op_sel_hi:[1,0]
	v_pk_fma_f32 v[218:219], v[92:93], s[34:35], v[60:61] neg_lo:[1,0,0] neg_hi:[1,0,0]
	v_pk_fma_f32 v[180:181], v[118:119], s[60:61], v[176:177] op_sel:[0,0,1] op_sel_hi:[1,0,0] neg_lo:[0,0,1] neg_hi:[0,0,1]
	v_pk_fma_f32 v[176:177], v[118:119], s[60:61], v[176:177] op_sel:[0,0,1] op_sel_hi:[1,0,0]
	v_mov_b32_e32 v182, v180
	v_mov_b32_e32 v183, v177
	v_pk_add_f32 v[170:171], v[182:183], v[170:171]
	v_pk_mul_f32 v[182:183], v[164:165], s[24:25] op_sel_hi:[1,0]
	v_pk_fma_f32 v[220:221], v[32:33], s[34:35], v[60:61]
	v_pk_fma_f32 v[184:185], v[120:121], s[48:49], v[182:183] op_sel:[0,0,1] op_sel_hi:[1,0,0] neg_lo:[0,0,1] neg_hi:[0,0,1]
	v_pk_fma_f32 v[182:183], v[120:121], s[48:49], v[182:183] op_sel:[0,0,1] op_sel_hi:[1,0,0]
	v_mov_b32_e32 v186, v184
	v_mov_b32_e32 v187, v183
	v_pk_add_f32 v[170:171], v[186:187], v[170:171]
	v_pk_mul_f32 v[186:187], v[166:167], s[40:41] op_sel_hi:[1,0]
	v_pk_add_f32 v[214:215], v[214:215], v[236:237]
	v_pk_fma_f32 v[188:189], v[122:123], s[54:55], v[186:187] op_sel:[0,0,1] op_sel_hi:[1,0,0] neg_lo:[0,0,1] neg_hi:[0,0,1]
	v_pk_fma_f32 v[186:187], v[122:123], s[54:55], v[186:187] op_sel:[0,0,1] op_sel_hi:[1,0,0]
	v_mov_b32_e32 v190, v188
	v_mov_b32_e32 v191, v187
	v_pk_add_f32 v[170:171], v[190:191], v[170:171]
	v_pk_mul_f32 v[190:191], v[168:169], s[8:9] op_sel_hi:[1,0]
	v_mov_b32_e32 v219, v221
	v_pk_fma_f32 v[192:193], v[124:125], s[58:59], v[190:191] op_sel:[0,0,1] op_sel_hi:[1,0,0] neg_lo:[0,0,1] neg_hi:[0,0,1]
	v_pk_fma_f32 v[190:191], v[124:125], s[58:59], v[190:191] op_sel:[0,0,1] op_sel_hi:[1,0,0]
	v_mov_b32_e32 v194, v192
	v_mov_b32_e32 v195, v191
	v_pk_add_f32 v[170:171], v[194:195], v[170:171]
	v_pk_mul_f32 v[194:195], v[138:139], s[22:23] op_sel_hi:[1,0]
	v_pk_add_f32 v[214:215], v[218:219], v[214:215]
	v_pk_fma_f32 v[196:197], v[126:127], s[52:53], v[194:195] op_sel:[0,0,1] op_sel_hi:[1,0,0] neg_lo:[0,0,1] neg_hi:[0,0,1]
	v_pk_fma_f32 v[194:195], v[126:127], s[52:53], v[194:195] op_sel:[0,0,1] op_sel_hi:[1,0,0]
	v_mov_b32_e32 v198, v196
	v_mov_b32_e32 v199, v195
	v_pk_add_f32 v[170:171], v[198:199], v[170:171]
	v_pk_mul_f32 v[198:199], v[172:173], s[34:35] op_sel_hi:[1,0]
	v_pk_mul_f32 v[204:205], v[164:165], s[42:43] op_sel_hi:[1,0]
	v_pk_fma_f32 v[200:201], v[130:131], s[50:51], v[198:199] op_sel:[0,0,1] op_sel_hi:[1,0,0] neg_lo:[0,0,1] neg_hi:[0,0,1]
	v_pk_fma_f32 v[198:199], v[130:131], s[50:51], v[198:199] op_sel:[0,0,1] op_sel_hi:[1,0,0]
	v_mov_b32_e32 v202, v200
	v_mov_b32_e32 v203, v199
	v_pk_add_f32 v[170:171], v[202:203], v[170:171]
	v_pk_mul_f32 v[202:203], v[128:129], s[14:15] op_sel_hi:[1,0]
	v_pk_mul_f32 v[206:207], v[166:167], s[26:27] op_sel_hi:[1,0]
	v_pk_fma_f32 v[218:219], v[118:119], s[54:55], v[202:203] op_sel:[0,0,1] op_sel_hi:[1,0,0] neg_lo:[0,0,1] neg_hi:[0,0,1]
	v_pk_fma_f32 v[202:203], v[118:119], s[54:55], v[202:203] op_sel:[0,0,1] op_sel_hi:[1,0,0]
	v_mov_b32_e32 v222, v218
	v_mov_b32_e32 v223, v203
	v_pk_add_f32 v[214:215], v[222:223], v[214:215]
	v_pk_fma_f32 v[222:223], v[120:121], s[44:45], v[204:205] op_sel:[0,0,1] op_sel_hi:[1,0,0] neg_lo:[0,0,1] neg_hi:[0,0,1]
	v_pk_fma_f32 v[204:205], v[120:121], s[44:45], v[204:205] op_sel:[0,0,1] op_sel_hi:[1,0,0]
	v_mov_b32_e32 v224, v222
	v_mov_b32_e32 v225, v205
	v_pk_add_f32 v[214:215], v[224:225], v[214:215]
	v_pk_fma_f32 v[224:225], v[122:123], s[60:61], v[206:207] op_sel:[0,0,1] op_sel_hi:[1,0,0] neg_lo:[0,0,1] neg_hi:[0,0,1]
	v_pk_fma_f32 v[206:207], v[122:123], s[60:61], v[206:207] op_sel:[0,0,1] op_sel_hi:[1,0,0]
	v_pk_mul_f32 v[208:209], v[168:169], s[22:23] op_sel_hi:[1,0]
	v_mov_b32_e32 v226, v224
	v_mov_b32_e32 v227, v207
	v_pk_add_f32 v[214:215], v[226:227], v[214:215]
	v_pk_fma_f32 v[226:227], v[124:125], s[52:53], v[208:209] op_sel:[0,0,1] op_sel_hi:[1,0,0] neg_lo:[0,0,1] neg_hi:[0,0,1]
	v_pk_fma_f32 v[208:209], v[124:125], s[52:53], v[208:209] op_sel:[0,0,1] op_sel_hi:[1,0,0]
	v_pk_fma_f32 v[50:51], v[34:35], s[20:21], v[50:51] neg_lo:[0,0,1] neg_hi:[0,0,1]
	v_pk_fma_f32 v[46:47], v[34:35], s[14:15], v[46:47] neg_lo:[0,0,1] neg_hi:[0,0,1]
	v_pk_mul_f32 v[210:211], v[138:139], s[38:39] op_sel_hi:[1,0]
	v_mov_b32_e32 v228, v226
	v_mov_b32_e32 v229, v209
	;; [unrolled: 1-line block ×3, first 2 shown]
	v_pk_fma_f32 v[48:49], v[32:33], s[28:29], v[48:49] neg_lo:[0,0,1] neg_hi:[0,0,1]
	v_mov_b32_e32 v95, v47
	v_pk_fma_f32 v[44:45], v[32:33], s[22:23], v[44:45] neg_lo:[0,0,1] neg_hi:[0,0,1]
	v_pk_add_f32 v[214:215], v[228:229], v[214:215]
	v_pk_fma_f32 v[228:229], v[126:127], s[58:59], v[210:211] op_sel:[0,0,1] op_sel_hi:[1,0,0] neg_lo:[0,0,1] neg_hi:[0,0,1]
	v_pk_fma_f32 v[210:211], v[126:127], s[58:59], v[210:211] op_sel:[0,0,1] op_sel_hi:[1,0,0]
	v_pk_add_f32 v[50:51], v[136:137], v[236:237]
	v_mov_b32_e32 v1, v49
	v_pk_add_f32 v[46:47], v[94:95], v[236:237]
	v_mov_b32_e32 v97, v45
	v_pk_mul_f32 v[212:213], v[172:173], s[20:21] op_sel_hi:[1,0]
	v_mov_b32_e32 v230, v228
	v_mov_b32_e32 v231, v211
	v_pk_add_f32 v[0:1], v[0:1], v[50:51]
	v_mov_b32_e32 v143, v141
	v_pk_add_f32 v[44:45], v[96:97], v[46:47]
	;; [unrolled: 2-line block ×3, first 2 shown]
	v_pk_fma_f32 v[230:231], v[130:131], s[46:47], v[212:213] op_sel:[0,0,1] op_sel_hi:[1,0,0] neg_lo:[0,0,1] neg_hi:[0,0,1]
	v_pk_fma_f32 v[212:213], v[130:131], s[46:47], v[212:213] op_sel:[0,0,1] op_sel_hi:[1,0,0]
	v_pk_add_f32 v[0:1], v[142:143], v[0:1]
	v_mov_b32_e32 v147, v145
	v_pk_add_f32 v[44:45], v[100:101], v[44:45]
	v_mov_b32_e32 v105, v103
	v_mov_b32_e32 v232, v230
	;; [unrolled: 1-line block ×3, first 2 shown]
	v_pk_add_f32 v[0:1], v[146:147], v[0:1]
	v_mov_b32_e32 v151, v149
	v_pk_add_f32 v[44:45], v[104:105], v[44:45]
	v_mov_b32_e32 v109, v107
	v_pk_add_f32 v[214:215], v[232:233], v[214:215]
	v_pk_add_f32 v[0:1], v[150:151], v[0:1]
	v_mov_b32_e32 v155, v153
	v_pk_add_f32 v[44:45], v[108:109], v[44:45]
	v_mov_b32_e32 v113, v111
	ds_write2_b64 v55, v[170:171], v[214:215] offset0:6 offset1:7
	v_pk_mul_f32 v[170:171], v[172:173], s[40:41] op_sel_hi:[1,0]
	v_pk_fma_f32 v[172:173], v[34:35], s[22:23], v[90:91] neg_lo:[1,0,0] neg_hi:[1,0,0]
	v_pk_fma_f32 v[214:215], v[34:35], s[22:23], v[90:91]
	v_pk_add_f32 v[0:1], v[154:155], v[0:1]
	v_mov_b32_e32 v159, v157
	v_pk_add_f32 v[44:45], v[112:113], v[44:45]
	v_mov_b32_e32 v117, v115
	v_mov_b32_e32 v173, v215
	v_pk_fma_f32 v[92:93], v[92:93], s[36:37], v[88:89] neg_lo:[1,0,0] neg_hi:[1,0,0]
	v_pk_fma_f32 v[232:233], v[32:33], s[36:37], v[88:89]
	v_pk_add_f32 v[0:1], v[158:159], v[0:1]
	v_mov_b32_e32 v163, v161
	v_pk_add_f32 v[44:45], v[116:117], v[44:45]
	v_mov_b32_e32 v135, v133
	v_pk_mul_f32 v[128:129], v[128:129], s[24:25] op_sel_hi:[1,0]
	v_pk_add_f32 v[172:173], v[172:173], v[236:237]
	v_mov_b32_e32 v93, v233
	v_pk_add_f32 v[0:1], v[162:163], v[0:1]
	v_pk_add_f32 v[44:45], v[134:135], v[44:45]
	;; [unrolled: 1-line block ×3, first 2 shown]
	v_pk_fma_f32 v[172:173], v[118:119], s[48:49], v[128:129] op_sel:[0,0,1] op_sel_hi:[1,0,0] neg_lo:[0,0,1] neg_hi:[0,0,1]
	v_pk_fma_f32 v[118:119], v[118:119], s[48:49], v[128:129] op_sel:[0,0,1] op_sel_hi:[1,0,0]
	ds_write2_b64 v55, v[0:1], v[44:45] offset0:12 offset1:13
	v_pk_fma_f32 v[0:1], v[34:35], s[16:17], v[42:43] neg_lo:[0,0,1] neg_hi:[0,0,1]
	v_pk_mul_f32 v[164:165], v[164:165], s[38:39] op_sel_hi:[1,0]
	v_mov_b32_e32 v128, v172
	v_mov_b32_e32 v129, v119
	;; [unrolled: 1-line block ×3, first 2 shown]
	v_pk_add_f32 v[92:93], v[128:129], v[92:93]
	v_pk_fma_f32 v[128:129], v[120:121], s[58:59], v[164:165] op_sel:[0,0,1] op_sel_hi:[1,0,0] neg_lo:[0,0,1] neg_hi:[0,0,1]
	v_pk_fma_f32 v[120:121], v[120:121], s[58:59], v[164:165] op_sel:[0,0,1] op_sel_hi:[1,0,0]
	v_pk_add_f32 v[0:1], v[30:31], v[236:237]
	v_pk_fma_f32 v[30:31], v[32:33], s[18:19], v[40:41] neg_lo:[0,0,1] neg_hi:[0,0,1]
	v_pk_mul_f32 v[166:167], v[166:167], s[18:19] op_sel_hi:[1,0]
	v_mov_b32_e32 v164, v128
	v_mov_b32_e32 v165, v121
	v_pk_fma_f32 v[90:91], v[34:35], s[22:23], v[90:91] neg_lo:[0,0,1] neg_hi:[0,0,1]
	v_pk_fma_f32 v[58:59], v[34:35], s[24:25], v[58:59] neg_lo:[0,0,1] neg_hi:[0,0,1]
	;; [unrolled: 1-line block ×3, first 2 shown]
	v_mov_b32_e32 v63, v31
	v_pk_fma_f32 v[30:31], v[34:35], s[8:9], v[38:39] neg_lo:[0,0,1] neg_hi:[0,0,1]
	v_pk_add_f32 v[92:93], v[164:165], v[92:93]
	v_pk_fma_f32 v[164:165], v[122:123], s[44:45], v[166:167] op_sel:[0,0,1] op_sel_hi:[1,0,0] neg_lo:[0,0,1] neg_hi:[0,0,1]
	v_pk_fma_f32 v[122:123], v[122:123], s[44:45], v[166:167] op_sel:[0,0,1] op_sel_hi:[1,0,0]
	v_mov_b32_e32 v215, v91
	v_pk_fma_f32 v[88:89], v[32:33], s[36:37], v[88:89] neg_lo:[0,0,1] neg_hi:[0,0,1]
	v_mov_b32_e32 v217, v59
	v_pk_fma_f32 v[60:61], v[32:33], s[34:35], v[60:61] neg_lo:[0,0,1] neg_hi:[0,0,1]
	;; [unrolled: 2-line block ×4, first 2 shown]
	v_pk_mul_f32 v[168:169], v[168:169], s[34:35] op_sel_hi:[1,0]
	v_mov_b32_e32 v166, v164
	v_mov_b32_e32 v167, v123
	v_pk_add_f32 v[90:91], v[214:215], v[236:237]
	v_mov_b32_e32 v233, v89
	v_pk_add_f32 v[58:59], v[216:217], v[236:237]
	;; [unrolled: 2-line block ×5, first 2 shown]
	v_pk_fma_f32 v[166:167], v[124:125], s[50:51], v[168:169] op_sel:[0,0,1] op_sel_hi:[1,0,0] neg_lo:[0,0,1] neg_hi:[0,0,1]
	v_pk_fma_f32 v[124:125], v[124:125], s[50:51], v[168:169] op_sel:[0,0,1] op_sel_hi:[1,0,0]
	v_pk_add_f32 v[88:89], v[232:233], v[90:91]
	v_mov_b32_e32 v119, v173
	v_pk_add_f32 v[58:59], v[220:221], v[58:59]
	v_mov_b32_e32 v203, v219
	;; [unrolled: 2-line block ×5, first 2 shown]
	v_pk_mul_f32 v[138:139], v[138:139], s[20:21] op_sel_hi:[1,0]
	v_mov_b32_e32 v168, v166
	v_mov_b32_e32 v169, v125
	v_pk_add_f32 v[88:89], v[118:119], v[88:89]
	v_mov_b32_e32 v121, v129
	v_pk_add_f32 v[58:59], v[202:203], v[58:59]
	;; [unrolled: 2-line block ×6, first 2 shown]
	v_pk_fma_f32 v[168:169], v[126:127], s[46:47], v[138:139] op_sel:[0,0,1] op_sel_hi:[1,0,0] neg_lo:[0,0,1] neg_hi:[0,0,1]
	v_pk_fma_f32 v[126:127], v[126:127], s[46:47], v[138:139] op_sel:[0,0,1] op_sel_hi:[1,0,0]
	v_pk_add_f32 v[88:89], v[120:121], v[88:89]
	v_mov_b32_e32 v123, v165
	v_pk_add_f32 v[58:59], v[204:205], v[58:59]
	v_mov_b32_e32 v207, v225
	v_pk_add_f32 v[52:53], v[182:183], v[52:53]
	v_mov_b32_e32 v187, v189
	v_pk_add_f32 v[0:1], v[70:71], v[0:1]
	v_mov_b32_e32 v75, v73
	v_pk_add_f32 v[2:3], v[12:13], v[2:3]
	v_mov_b32_e32 v17, v15
	v_mov_b32_e32 v138, v168
	v_mov_b32_e32 v139, v127
	v_pk_add_f32 v[88:89], v[122:123], v[88:89]
	v_mov_b32_e32 v125, v167
	v_pk_add_f32 v[58:59], v[206:207], v[58:59]
	;; [unrolled: 2-line block ×6, first 2 shown]
	v_pk_fma_f32 v[138:139], v[130:131], s[54:55], v[170:171] op_sel:[0,0,1] op_sel_hi:[1,0,0] neg_lo:[0,0,1] neg_hi:[0,0,1]
	v_pk_fma_f32 v[130:131], v[130:131], s[54:55], v[170:171] op_sel:[0,0,1] op_sel_hi:[1,0,0]
	v_pk_add_f32 v[88:89], v[124:125], v[88:89]
	v_mov_b32_e32 v127, v169
	v_pk_add_f32 v[58:59], v[208:209], v[58:59]
	v_mov_b32_e32 v211, v229
	;; [unrolled: 2-line block ×5, first 2 shown]
	v_mov_b32_e32 v170, v138
	v_mov_b32_e32 v171, v131
	v_pk_add_f32 v[88:89], v[126:127], v[88:89]
	v_mov_b32_e32 v131, v139
	v_pk_add_f32 v[58:59], v[210:211], v[58:59]
	;; [unrolled: 2-line block ×3, first 2 shown]
	v_mov_b32_e32 v199, v201
	v_accvgpr_read_b32 v47, a3
	v_pk_add_f32 v[0:1], v[82:83], v[0:1]
	v_mov_b32_e32 v87, v85
	v_pk_add_f32 v[2:3], v[24:25], v[2:3]
	v_mov_b32_e32 v29, v27
	v_pk_add_f32 v[92:93], v[170:171], v[92:93]
	v_pk_add_f32 v[88:89], v[130:131], v[88:89]
	;; [unrolled: 1-line block ×4, first 2 shown]
	v_accvgpr_read_b32 v46, a2
	v_pk_add_f32 v[0:1], v[86:87], v[0:1]
	v_pk_add_f32 v[2:3], v[28:29], v[2:3]
	ds_write2_b64 v55, v[92:93], v[88:89] offset0:8 offset1:9
	ds_write2_b64 v55, v[58:59], v[52:53] offset0:10 offset1:11
	;; [unrolled: 1-line block ×3, first 2 shown]
	ds_write_b64 v55, a[128:129] offset:128
.LBB0_7:
	s_or_b64 exec, exec, s[56:57]
	s_mov_b64 s[8:9], 0x66
	v_lshl_add_u64 v[144:145], v[46:47], 0, s[8:9]
	s_mov_b64 s[8:9], 0x99
	v_lshl_add_u64 v[142:143], v[46:47], 0, s[8:9]
	;; [unrolled: 2-line block ×9, first 2 shown]
	s_movk_i32 s8, 0xf1
	v_mul_lo_u16_sdwa v0, v46, s8 dst_sel:DWORD dst_unused:UNUSED_PAD src0_sel:BYTE_0 src1_sel:DWORD
	s_mov_b32 s9, 0xf0f1
	v_lshrrev_b16_e32 v0, 12, v0
	v_mul_u32_u24_sdwa v6, v128, s9 dst_sel:DWORD dst_unused:UNUSED_PAD src0_sel:WORD_0 src1_sel:DWORD
	v_mul_lo_u16_e32 v1, 17, v0
	v_mul_lo_u16_sdwa v3, v54, s8 dst_sel:DWORD dst_unused:UNUSED_PAD src0_sel:BYTE_0 src1_sel:DWORD
	v_lshrrev_b32_e32 v6, 20, v6
	v_sub_u16_e32 v1, v46, v1
	v_lshrrev_b16_e32 v3, 12, v3
	v_mul_lo_u16_e32 v7, 17, v6
	v_lshlrev_b16_e32 v2, 1, v1
	v_mul_lo_u16_e32 v4, 17, v3
	v_sub_u16_e32 v7, v128, v7
	v_and_b32_e32 v2, 0xfe, v2
	v_sub_u16_e32 v4, v54, v4
	v_lshlrev_b16_e32 v8, 1, v7
	v_lshlrev_b32_e32 v2, 3, v2
	v_and_b32_e32 v4, 0xff, v4
	v_lshlrev_b32_e32 v8, 3, v8
	v_mul_u32_u24_sdwa v11, v132, s9 dst_sel:DWORD dst_unused:UNUSED_PAD src0_sel:WORD_0 src1_sel:DWORD
	s_waitcnt lgkmcnt(0)
	; wave barrier
	s_waitcnt lgkmcnt(0)
	v_lshlrev_b32_e32 v5, 4, v4
	global_load_dwordx4 v[108:111], v2, s[0:1]
	global_load_dwordx4 v[112:115], v5, s[0:1]
	;; [unrolled: 1-line block ×3, first 2 shown]
	v_lshrrev_b32_e32 v11, 20, v11
	v_mul_u32_u24_sdwa v14, v130, s9 dst_sel:DWORD dst_unused:UNUSED_PAD src0_sel:WORD_0 src1_sel:DWORD
	v_mul_lo_u16_e32 v12, 17, v11
	v_lshrrev_b32_e32 v14, 20, v14
	v_mul_lo_u16_sdwa v2, v144, s8 dst_sel:DWORD dst_unused:UNUSED_PAD src0_sel:BYTE_0 src1_sel:DWORD
	v_sub_u16_e32 v12, v132, v12
	v_mul_lo_u16_e32 v15, 17, v14
	v_lshrrev_b16_e32 v2, 12, v2
	v_mul_lo_u16_sdwa v9, v142, s8 dst_sel:DWORD dst_unused:UNUSED_PAD src0_sel:BYTE_0 src1_sel:DWORD
	v_lshlrev_b16_e32 v13, 1, v12
	v_sub_u16_e32 v15, v130, v15
	v_mul_lo_u16_e32 v5, 17, v2
	v_lshrrev_b16_e32 v9, 12, v9
	v_lshlrev_b32_e32 v13, 3, v13
	v_lshlrev_b16_e32 v16, 1, v15
	v_sub_u16_e32 v5, v144, v5
	v_mul_lo_u16_e32 v10, 17, v9
	v_lshlrev_b32_e32 v16, 3, v16
	global_load_dwordx4 v[36:39], v13, s[0:1]
	global_load_dwordx4 v[32:35], v16, s[0:1]
	v_and_b32_e32 v5, 0xff, v5
	v_sub_u16_e32 v10, v142, v10
	v_lshlrev_b32_e32 v8, 4, v5
	v_and_b32_e32 v10, 0xff, v10
	v_lshlrev_b32_e32 v13, 4, v10
	global_load_dwordx4 v[122:125], v8, s[0:1]
	global_load_dwordx4 v[104:107], v13, s[0:1]
	v_mul_lo_u16_sdwa v8, v140, s8 dst_sel:DWORD dst_unused:UNUSED_PAD src0_sel:BYTE_0 src1_sel:DWORD
	v_lshrrev_b16_e32 v8, 12, v8
	v_mul_u32_u24_sdwa v17, v192, s9 dst_sel:DWORD dst_unused:UNUSED_PAD src0_sel:WORD_0 src1_sel:DWORD
	v_mul_lo_u16_e32 v13, 17, v8
	v_lshrrev_b32_e32 v17, 20, v17
	v_sub_u16_e32 v13, v140, v13
	v_mul_lo_u16_e32 v18, 17, v17
	v_and_b32_e32 v13, 0xff, v13
	v_sub_u16_e32 v18, v192, v18
	v_lshlrev_b32_e32 v16, 4, v13
	v_lshlrev_b16_e32 v19, 1, v18
	v_lshlrev_b32_e32 v19, 3, v19
	global_load_dwordx4 v[56:59], v16, s[0:1]
	global_load_dwordx4 v[50:53], v19, s[0:1]
	v_mul_u32_u24_sdwa v16, v136, s9 dst_sel:DWORD dst_unused:UNUSED_PAD src0_sel:WORD_0 src1_sel:DWORD
	v_lshrrev_b32_e32 v16, 20, v16
	v_mul_u32_u24_sdwa v21, v134, s9 dst_sel:DWORD dst_unused:UNUSED_PAD src0_sel:WORD_0 src1_sel:DWORD
	v_mul_lo_u16_e32 v19, 17, v16
	v_lshrrev_b32_e32 v21, 20, v21
	v_sub_u16_e32 v19, v136, v19
	v_mul_lo_u16_e32 v22, 17, v21
	v_lshlrev_b16_e32 v20, 1, v19
	v_sub_u16_e32 v22, v134, v22
	v_lshlrev_b32_e32 v20, 3, v20
	v_lshlrev_b16_e32 v23, 1, v22
	v_lshlrev_b32_e32 v23, 3, v23
	global_load_dwordx4 v[78:81], v20, s[0:1]
	global_load_dwordx4 v[64:67], v23, s[0:1]
	v_mad_legacy_u16 v0, v0, 51, v1
	v_mov_b32_e32 v1, 3
	v_lshlrev_b32_sdwa v133, v1, v0 dst_sel:DWORD dst_unused:UNUSED_PAD src0_sel:DWORD src1_sel:BYTE_0
	v_mul_u32_u24_e32 v0, 51, v3
	v_add_lshl_u32 v131, v0, v4, 3
	v_mul_u32_u24_e32 v0, 51, v2
	v_add_lshl_u32 v129, v0, v5, 3
	;; [unrolled: 2-line block ×4, first 2 shown]
	v_mad_legacy_u16 v0, v17, 51, v18
	v_lshlrev_b32_e32 v117, 3, v0
	v_mad_legacy_u16 v0, v16, 51, v19
	v_accvgpr_read_b32 v100, a0
	v_lshlrev_b32_e32 v116, 3, v0
	v_mad_legacy_u16 v0, v21, 51, v22
	v_add_u32_e32 v55, 0x1c00, v100
	v_lshlrev_b32_e32 v103, 3, v0
	v_mad_legacy_u16 v0, v11, 51, v12
	ds_read2_b64 v[18:21], v55 offset0:124 offset1:175
	v_lshlrev_b32_e32 v101, 3, v0
	v_mad_legacy_u16 v0, v14, 51, v15
	v_lshlrev_b32_e32 v77, 3, v0
	v_mad_legacy_u16 v0, v6, 51, v7
	v_add_u32_e32 v75, 0xc00, v100
	v_lshlrev_b32_e32 v235, 3, v0
	ds_read2_b64 v[0:3], v75 offset0:126 offset1:177
	ds_read_b64 v[4:5], v100 offset:13056
	s_waitcnt vmcnt(8) lgkmcnt(2)
	v_pk_mul_f32 v[6:7], v[20:21], v[24:25] op_sel:[0,1]
	v_add_u32_e32 v74, 0x2c00, v100
	v_pk_fma_f32 v[8:9], v[20:21], v[24:25], v[6:7] op_sel:[0,0,1] op_sel_hi:[1,1,0] neg_lo:[0,0,1] neg_hi:[0,0,1]
	v_pk_fma_f32 v[6:7], v[20:21], v[24:25], v[6:7] op_sel:[0,0,1] op_sel_hi:[1,0,0]
	ds_read2_b64 v[28:31], v74 offset0:122 offset1:173
	v_mov_b32_e32 v6, v27
	v_mov_b32_e32 v9, v7
	s_waitcnt lgkmcnt(1)
	v_pk_mul_f32 v[6:7], v[4:5], v[6:7] op_sel_hi:[1,0]
	s_mov_b32 s8, 0x3f5db3d7
	v_pk_fma_f32 v[10:11], v[4:5], v[26:27], v[6:7] op_sel:[0,0,1] op_sel_hi:[1,1,0] neg_lo:[0,0,1] neg_hi:[0,0,1]
	v_pk_fma_f32 v[4:5], v[4:5], v[26:27], v[6:7] op_sel:[0,0,1] op_sel_hi:[1,0,0]
	v_add_u32_e32 v70, 0x800, v100
	v_mov_b32_e32 v11, v5
	v_pk_add_f32 v[4:5], v[8:9], v[10:11]
	v_pk_add_f32 v[6:7], v[8:9], v[10:11] neg_lo:[0,1] neg_hi:[0,1]
	v_pk_fma_f32 v[4:5], v[4:5], 0.5, v[0:1] op_sel_hi:[1,0,1] neg_lo:[1,0,0] neg_hi:[1,0,0]
	v_pk_mul_f32 v[6:7], v[6:7], s[8:9] op_sel_hi:[1,0]
	v_add_u32_e32 v71, 0x1800, v100
	v_pk_add_f32 v[12:13], v[4:5], v[6:7] op_sel:[0,1] op_sel_hi:[1,0] neg_lo:[0,1] neg_hi:[0,1]
	s_waitcnt vmcnt(6)
	v_pk_mul_f32 v[20:21], v[18:19], v[32:33] op_sel:[0,1]
	v_pk_add_f32 v[14:15], v[4:5], v[6:7] op_sel:[0,1] op_sel_hi:[1,0]
	v_pk_fma_f32 v[16:17], v[18:19], v[32:33], v[20:21] op_sel:[0,0,1] op_sel_hi:[1,1,0] neg_lo:[0,0,1] neg_hi:[0,0,1]
	v_pk_fma_f32 v[18:19], v[18:19], v[32:33], v[20:21] op_sel:[0,0,1] op_sel_hi:[1,0,0]
	ds_read2_b64 v[4:7], v70 offset0:152 offset1:203
	v_mov_b32_e32 v18, v35
	s_waitcnt lgkmcnt(1)
	v_pk_mul_f32 v[20:21], v[30:31], v[18:19] op_sel_hi:[1,0]
	v_accvgpr_write_b32 a173, v35
	v_mov_b32_e32 v17, v19
	v_pk_fma_f32 v[18:19], v[30:31], v[34:35], v[20:21] op_sel:[0,0,1] op_sel_hi:[1,1,0] neg_lo:[0,0,1] neg_hi:[0,0,1]
	v_accvgpr_write_b32 a172, v34
	v_accvgpr_write_b32 a171, v33
	v_accvgpr_write_b32 a170, v32
	v_pk_fma_f32 v[20:21], v[30:31], v[34:35], v[20:21] op_sel:[0,0,1] op_sel_hi:[1,0,0]
	ds_read2_b64 v[32:35], v71 offset0:150 offset1:201
	v_mov_b32_e32 v19, v21
	v_pk_add_f32 v[20:21], v[16:17], v[18:19]
	v_accvgpr_write_b32 a125, v27
	s_waitcnt lgkmcnt(1)
	v_pk_fma_f32 v[22:23], v[20:21], 0.5, v[6:7] op_sel_hi:[1,0,1] neg_lo:[1,0,0] neg_hi:[1,0,0]
	v_pk_add_f32 v[20:21], v[16:17], v[18:19] neg_lo:[0,1] neg_hi:[0,1]
	v_accvgpr_write_b32 a124, v26
	v_accvgpr_write_b32 a123, v25
	;; [unrolled: 1-line block ×3, first 2 shown]
	v_pk_mul_f32 v[24:25], v[20:21], s[8:9] op_sel_hi:[1,0]
	s_waitcnt lgkmcnt(0)
	v_pk_mul_f32 v[26:27], v[34:35], v[36:37] op_sel:[0,1]
	v_pk_add_f32 v[20:21], v[22:23], v[24:25] op_sel:[0,1] op_sel_hi:[1,0] neg_lo:[0,1] neg_hi:[0,1]
	v_pk_add_f32 v[22:23], v[22:23], v[24:25] op_sel:[0,1] op_sel_hi:[1,0]
	v_pk_fma_f32 v[24:25], v[34:35], v[36:37], v[26:27] op_sel:[0,0,1] op_sel_hi:[1,1,0] neg_lo:[0,0,1] neg_hi:[0,0,1]
	v_pk_fma_f32 v[26:27], v[34:35], v[36:37], v[26:27] op_sel:[0,0,1] op_sel_hi:[1,0,0]
	v_accvgpr_write_b32 a165, v39
	v_mov_b32_e32 v26, v39
	v_pk_mul_f32 v[30:31], v[28:29], v[26:27] op_sel_hi:[1,0]
	v_add_u32_e32 v72, 0x2800, v100
	v_mov_b32_e32 v25, v27
	v_pk_fma_f32 v[26:27], v[28:29], v[38:39], v[30:31] op_sel:[0,0,1] op_sel_hi:[1,1,0] neg_lo:[0,0,1] neg_hi:[0,0,1]
	v_accvgpr_write_b32 a164, v38
	v_accvgpr_write_b32 a163, v37
	;; [unrolled: 1-line block ×3, first 2 shown]
	v_pk_fma_f32 v[28:29], v[28:29], v[38:39], v[30:31] op_sel:[0,0,1] op_sel_hi:[1,0,0]
	ds_read2_b64 v[38:41], v72 offset0:148 offset1:199
	v_mov_b32_e32 v27, v29
	v_pk_add_f32 v[28:29], v[24:25], v[26:27]
	s_waitcnt vmcnt(0)
	v_pk_mul_f32 v[42:43], v[32:33], v[64:65] op_sel:[0,1]
	v_pk_fma_f32 v[30:31], v[28:29], 0.5, v[4:5] op_sel_hi:[1,0,1] neg_lo:[1,0,0] neg_hi:[1,0,0]
	v_pk_add_f32 v[28:29], v[24:25], v[26:27] neg_lo:[0,1] neg_hi:[0,1]
	v_pk_fma_f32 v[60:61], v[32:33], v[64:65], v[42:43] op_sel:[0,0,1] op_sel_hi:[1,1,0] neg_lo:[0,0,1] neg_hi:[0,0,1]
	v_pk_fma_f32 v[32:33], v[32:33], v[64:65], v[42:43] op_sel:[0,0,1] op_sel_hi:[1,0,0]
	v_pk_mul_f32 v[34:35], v[28:29], s[8:9] op_sel_hi:[1,0]
	v_mov_b32_e32 v32, v67
	v_pk_add_f32 v[28:29], v[30:31], v[34:35] op_sel:[0,1] op_sel_hi:[1,0] neg_lo:[0,1] neg_hi:[0,1]
	v_pk_add_f32 v[30:31], v[30:31], v[34:35] op_sel:[0,1] op_sel_hi:[1,0]
	ds_read2_b64 v[34:37], v70 offset0:50 offset1:101
	v_mov_b32_e32 v61, v33
	s_waitcnt lgkmcnt(1)
	v_pk_mul_f32 v[32:33], v[40:41], v[32:33] op_sel_hi:[1,0]
	v_accvgpr_write_b32 a169, v67
	v_pk_fma_f32 v[62:63], v[40:41], v[66:67], v[32:33] op_sel:[0,0,1] op_sel_hi:[1,1,0] neg_lo:[0,0,1] neg_hi:[0,0,1]
	v_pk_fma_f32 v[32:33], v[40:41], v[66:67], v[32:33] op_sel:[0,0,1] op_sel_hi:[1,0,0]
	ds_read2_b64 v[40:43], v71 offset0:48 offset1:99
	v_mov_b32_e32 v63, v33
	v_pk_add_f32 v[32:33], v[60:61], v[62:63]
	v_pk_add_f32 v[44:45], v[60:61], v[62:63] neg_lo:[0,1] neg_hi:[0,1]
	s_waitcnt lgkmcnt(1)
	v_pk_fma_f32 v[32:33], v[32:33], 0.5, v[36:37] op_sel_hi:[1,0,1] neg_lo:[1,0,0] neg_hi:[1,0,0]
	v_pk_mul_f32 v[44:45], v[44:45], s[8:9] op_sel_hi:[1,0]
	v_accvgpr_write_b32 a168, v66
	v_accvgpr_write_b32 a167, v65
	;; [unrolled: 1-line block ×3, first 2 shown]
	v_pk_add_f32 v[64:65], v[32:33], v[44:45] op_sel:[0,1] op_sel_hi:[1,0] neg_lo:[0,1] neg_hi:[0,1]
	v_pk_add_f32 v[32:33], v[32:33], v[44:45] op_sel:[0,1] op_sel_hi:[1,0]
	s_waitcnt lgkmcnt(0)
	v_pk_mul_f32 v[44:45], v[42:43], v[78:79] op_sel:[0,1]
	v_accvgpr_write_b32 a157, v81
	v_pk_fma_f32 v[66:67], v[42:43], v[78:79], v[44:45] op_sel:[0,0,1] op_sel_hi:[1,1,0] neg_lo:[0,0,1] neg_hi:[0,0,1]
	v_pk_fma_f32 v[42:43], v[42:43], v[78:79], v[44:45] op_sel:[0,0,1] op_sel_hi:[1,0,0]
	v_mov_b32_e32 v102, v46
	v_mov_b32_e32 v42, v81
	;; [unrolled: 1-line block ×3, first 2 shown]
	v_pk_mul_f32 v[42:43], v[38:39], v[42:43] op_sel_hi:[1,0]
	v_accvgpr_write_b32 a156, v80
	v_pk_fma_f32 v[68:69], v[38:39], v[80:81], v[42:43] op_sel:[0,0,1] op_sel_hi:[1,1,0] neg_lo:[0,0,1] neg_hi:[0,0,1]
	v_pk_fma_f32 v[38:39], v[38:39], v[80:81], v[42:43] op_sel:[0,0,1] op_sel_hi:[1,0,0]
	v_accvgpr_write_b32 a155, v79
	v_mov_b32_e32 v69, v39
	v_pk_add_f32 v[38:39], v[66:67], v[68:69]
	v_pk_add_f32 v[42:43], v[66:67], v[68:69] neg_lo:[0,1] neg_hi:[0,1]
	v_pk_fma_f32 v[38:39], v[38:39], 0.5, v[34:35] op_sel_hi:[1,0,1] neg_lo:[1,0,0] neg_hi:[1,0,0]
	v_pk_mul_f32 v[42:43], v[42:43], s[8:9] op_sel_hi:[1,0]
	v_accvgpr_write_b32 a154, v78
	v_pk_add_f32 v[78:79], v[38:39], v[42:43] op_sel:[0,1] op_sel_hi:[1,0] neg_lo:[0,1] neg_hi:[0,1]
	v_pk_add_f32 v[80:81], v[38:39], v[42:43] op_sel:[0,1] op_sel_hi:[1,0]
	ds_read2_b64 v[42:45], v100 offset0:204 offset1:255
	ds_read2_b64 v[46:49], v72 offset0:46 offset1:97
	v_pk_mul_f32 v[38:39], v[40:41], v[50:51] op_sel:[0,1]
	v_add_u32_e32 v73, 0x1000, v100
	v_pk_fma_f32 v[82:83], v[40:41], v[50:51], v[38:39] op_sel:[0,0,1] op_sel_hi:[1,1,0] neg_lo:[0,0,1] neg_hi:[0,0,1]
	v_pk_fma_f32 v[38:39], v[40:41], v[50:51], v[38:39] op_sel:[0,0,1] op_sel_hi:[1,0,0]
	v_accvgpr_write_b32 a145, v53
	v_mov_b32_e32 v38, v53
	v_mov_b32_e32 v83, v39
	s_waitcnt lgkmcnt(0)
	v_pk_mul_f32 v[38:39], v[48:49], v[38:39] op_sel_hi:[1,0]
	v_accvgpr_write_b32 a144, v52
	v_pk_fma_f32 v[84:85], v[48:49], v[52:53], v[38:39] op_sel:[0,0,1] op_sel_hi:[1,1,0] neg_lo:[0,0,1] neg_hi:[0,0,1]
	v_pk_fma_f32 v[38:39], v[48:49], v[52:53], v[38:39] op_sel:[0,0,1] op_sel_hi:[1,0,0]
	v_accvgpr_write_b32 a143, v51
	v_mov_b32_e32 v85, v39
	v_pk_add_f32 v[38:39], v[82:83], v[84:85]
	v_accvgpr_write_b32 a142, v50
	v_pk_fma_f32 v[48:49], v[38:39], 0.5, v[44:45] op_sel_hi:[1,0,1] neg_lo:[1,0,0] neg_hi:[1,0,0]
	ds_read2_b64 v[38:41], v73 offset0:202 offset1:253
	v_pk_add_f32 v[50:51], v[82:83], v[84:85] neg_lo:[0,1] neg_hi:[0,1]
	v_add_u32_e32 v76, 0x2000, v100
	v_pk_mul_f32 v[50:51], v[50:51], s[8:9] op_sel_hi:[1,0]
	v_accvgpr_write_b32 a141, v59
	v_pk_add_f32 v[86:87], v[48:49], v[50:51] op_sel:[0,1] op_sel_hi:[1,0] neg_lo:[0,1] neg_hi:[0,1]
	v_pk_add_f32 v[88:89], v[48:49], v[50:51] op_sel:[0,1] op_sel_hi:[1,0]
	s_waitcnt lgkmcnt(0)
	v_pk_mul_f32 v[48:49], v[40:41], v[56:57] op_sel:[0,1]
	ds_read2_b64 v[50:53], v76 offset0:200 offset1:251
	v_pk_fma_f32 v[90:91], v[40:41], v[56:57], v[48:49] op_sel:[0,0,1] op_sel_hi:[1,1,0] neg_lo:[0,0,1] neg_hi:[0,0,1]
	v_pk_fma_f32 v[40:41], v[40:41], v[56:57], v[48:49] op_sel:[0,0,1] op_sel_hi:[1,0,0]
	v_accvgpr_write_b32 a140, v58
	v_mov_b32_e32 v40, v59
	v_mov_b32_e32 v91, v41
	v_pk_mul_f32 v[40:41], v[46:47], v[40:41] op_sel_hi:[1,0]
	v_accvgpr_write_b32 a139, v57
	v_pk_fma_f32 v[92:93], v[46:47], v[58:59], v[40:41] op_sel:[0,0,1] op_sel_hi:[1,1,0] neg_lo:[0,0,1] neg_hi:[0,0,1]
	v_pk_fma_f32 v[40:41], v[46:47], v[58:59], v[40:41] op_sel:[0,0,1] op_sel_hi:[1,0,0]
	ds_read2_b64 v[46:49], v100 offset0:102 offset1:153
	v_mov_b32_e32 v93, v41
	v_pk_add_f32 v[40:41], v[42:43], v[90:91]
	v_accvgpr_write_b32 a138, v56
	v_pk_add_f32 v[94:95], v[40:41], v[92:93]
	v_pk_mul_f32 v[40:41], v[38:39], v[104:105] op_sel:[0,1]
	v_accvgpr_write_b32 a137, v107
	v_pk_fma_f32 v[96:97], v[38:39], v[104:105], v[40:41] op_sel:[0,0,1] op_sel_hi:[1,1,0] neg_lo:[0,0,1] neg_hi:[0,0,1]
	v_pk_fma_f32 v[38:39], v[38:39], v[104:105], v[40:41] op_sel:[0,0,1] op_sel_hi:[1,0,0]
	v_accvgpr_write_b32 a136, v106
	v_mov_b32_e32 v38, v107
	v_mov_b32_e32 v97, v39
	s_waitcnt lgkmcnt(1)
	v_pk_mul_f32 v[56:57], v[52:53], v[38:39] op_sel_hi:[1,0]
	ds_read2_b64 v[38:41], v73 offset0:100 offset1:151
	v_pk_fma_f32 v[98:99], v[52:53], v[106:107], v[56:57] op_sel:[0,0,1] op_sel_hi:[1,1,0] neg_lo:[0,0,1] neg_hi:[0,0,1]
	v_pk_fma_f32 v[52:53], v[52:53], v[106:107], v[56:57] op_sel:[0,0,1] op_sel_hi:[1,0,0]
	v_accvgpr_write_b32 a135, v105
	v_mov_b32_e32 v99, v53
	s_waitcnt lgkmcnt(1)
	v_pk_add_f32 v[52:53], v[48:49], v[96:97]
	v_accvgpr_write_b32 a134, v104
	v_pk_add_f32 v[104:105], v[52:53], v[98:99]
	s_waitcnt lgkmcnt(0)
	v_pk_mul_f32 v[52:53], v[40:41], v[122:123] op_sel:[0,1]
	v_accvgpr_write_b32 a133, v125
	v_pk_fma_f32 v[106:107], v[40:41], v[122:123], v[52:53] op_sel:[0,0,1] op_sel_hi:[1,1,0] neg_lo:[0,0,1] neg_hi:[0,0,1]
	v_pk_fma_f32 v[40:41], v[40:41], v[122:123], v[52:53] op_sel:[0,0,1] op_sel_hi:[1,0,0]
	v_accvgpr_write_b32 a132, v124
	v_mov_b32_e32 v40, v125
	v_mov_b32_e32 v107, v41
	v_pk_mul_f32 v[40:41], v[50:51], v[40:41] op_sel_hi:[1,0]
	v_accvgpr_write_b32 a131, v123
	v_pk_fma_f32 v[120:121], v[50:51], v[124:125], v[40:41] op_sel:[0,0,1] op_sel_hi:[1,1,0] neg_lo:[0,0,1] neg_hi:[0,0,1]
	v_pk_fma_f32 v[40:41], v[50:51], v[124:125], v[40:41] op_sel:[0,0,1] op_sel_hi:[1,0,0]
	ds_read2_b64 v[50:53], v100 offset1:51
	ds_read2_b64 v[56:59], v76 offset0:98 offset1:149
	v_accvgpr_write_b32 a130, v122
	v_pk_mul_f32 v[122:123], v[38:39], v[112:113] op_sel:[0,1]
	s_waitcnt lgkmcnt(0)
	v_pk_fma_f32 v[124:125], v[38:39], v[112:113], v[122:123] op_sel:[0,0,1] op_sel_hi:[1,1,0] neg_lo:[0,0,1] neg_hi:[0,0,1]
	v_pk_fma_f32 v[38:39], v[38:39], v[112:113], v[122:123] op_sel:[0,0,1] op_sel_hi:[1,0,0]
	; wave barrier
	s_nop 0
	v_mov_b32_e32 v38, v115
	v_mov_b32_e32 v125, v39
	v_pk_mul_f32 v[38:39], v[58:59], v[38:39] op_sel_hi:[1,0]
	v_mov_b32_e32 v121, v41
	v_pk_fma_f32 v[122:123], v[58:59], v[114:115], v[38:39] op_sel:[0,0,1] op_sel_hi:[1,1,0] neg_lo:[0,0,1] neg_hi:[0,0,1]
	v_pk_fma_f32 v[38:39], v[58:59], v[114:115], v[38:39] op_sel:[0,0,1] op_sel_hi:[1,0,0]
	v_pk_mul_f32 v[58:59], v[2:3], v[108:109] op_sel:[0,1]
	v_mov_b32_e32 v123, v39
	v_pk_fma_f32 v[126:127], v[2:3], v[108:109], v[58:59] op_sel:[0,0,1] op_sel_hi:[1,1,0] neg_lo:[0,0,1] neg_hi:[0,0,1]
	v_pk_fma_f32 v[2:3], v[2:3], v[108:109], v[58:59] op_sel:[0,0,1] op_sel_hi:[1,0,0]
	v_pk_add_f32 v[38:39], v[52:53], v[124:125]
	v_mov_b32_e32 v2, v111
	v_mov_b32_e32 v127, v3
	v_pk_mul_f32 v[2:3], v[56:57], v[2:3] op_sel_hi:[1,0]
	v_pk_add_f32 v[38:39], v[38:39], v[122:123]
	v_pk_fma_f32 v[58:59], v[56:57], v[110:111], v[2:3] op_sel:[0,0,1] op_sel_hi:[1,1,0] neg_lo:[0,0,1] neg_hi:[0,0,1]
	v_pk_fma_f32 v[2:3], v[56:57], v[110:111], v[2:3] op_sel:[0,0,1] op_sel_hi:[1,0,0]
	v_pk_add_f32 v[40:41], v[46:47], v[106:107]
	v_mov_b32_e32 v59, v3
	v_pk_add_f32 v[56:57], v[126:127], v[58:59]
	v_pk_add_f32 v[2:3], v[50:51], v[126:127]
	v_pk_fma_f32 v[50:51], v[56:57], 0.5, v[50:51] op_sel_hi:[1,0,1] neg_lo:[1,0,0] neg_hi:[1,0,0]
	v_pk_add_f32 v[56:57], v[126:127], v[58:59] neg_lo:[0,1] neg_hi:[0,1]
	v_pk_add_f32 v[2:3], v[2:3], v[58:59]
	v_pk_mul_f32 v[56:57], v[56:57], s[8:9] op_sel_hi:[1,0]
	v_pk_add_f32 v[40:41], v[40:41], v[120:121]
	v_pk_add_f32 v[58:59], v[50:51], v[56:57] op_sel:[0,1] op_sel_hi:[1,0]
	v_pk_add_f32 v[50:51], v[50:51], v[56:57] op_sel:[0,1] op_sel_hi:[1,0] neg_lo:[0,1] neg_hi:[0,1]
	v_mov_b32_e32 v56, v58
	v_mov_b32_e32 v57, v51
	v_mov_b32_e32 v51, v59
	ds_write2_b64 v133, v[2:3], v[56:57] offset1:17
	ds_write_b64 v133, v[50:51] offset:272
	v_pk_add_f32 v[2:3], v[124:125], v[122:123]
	v_pk_add_f32 v[50:51], v[124:125], v[122:123] neg_lo:[0,1] neg_hi:[0,1]
	v_pk_fma_f32 v[2:3], v[2:3], 0.5, v[52:53] op_sel_hi:[1,0,1] neg_lo:[1,0,0] neg_hi:[1,0,0]
	v_pk_mul_f32 v[50:51], v[50:51], s[8:9] op_sel_hi:[1,0]
	v_pk_add_f32 v[0:1], v[0:1], v[8:9]
	v_pk_add_f32 v[52:53], v[2:3], v[50:51] op_sel:[0,1] op_sel_hi:[1,0]
	v_pk_add_f32 v[2:3], v[2:3], v[50:51] op_sel:[0,1] op_sel_hi:[1,0] neg_lo:[0,1] neg_hi:[0,1]
	v_mov_b32_e32 v50, v52
	v_mov_b32_e32 v51, v3
	v_mov_b32_e32 v3, v53
	ds_write2_b64 v131, v[38:39], v[50:51] offset1:17
	ds_write_b64 v131, v[2:3] offset:272
	v_pk_add_f32 v[2:3], v[106:107], v[120:121]
	v_pk_add_f32 v[38:39], v[106:107], v[120:121] neg_lo:[0,1] neg_hi:[0,1]
	v_pk_fma_f32 v[2:3], v[2:3], 0.5, v[46:47] op_sel_hi:[1,0,1] neg_lo:[1,0,0] neg_hi:[1,0,0]
	;; [unrolled: 12-line block ×3, first 2 shown]
	v_pk_mul_f32 v[38:39], v[38:39], s[8:9] op_sel_hi:[1,0]
	v_accvgpr_write_b32 a113, v111
	v_pk_add_f32 v[40:41], v[2:3], v[38:39] op_sel:[0,1] op_sel_hi:[1,0]
	v_pk_add_f32 v[2:3], v[2:3], v[38:39] op_sel:[0,1] op_sel_hi:[1,0] neg_lo:[0,1] neg_hi:[0,1]
	v_mov_b32_e32 v38, v40
	v_mov_b32_e32 v39, v3
	;; [unrolled: 1-line block ×3, first 2 shown]
	ds_write2_b64 v119, v[104:105], v[38:39] offset1:17
	ds_write_b64 v119, v[2:3] offset:272
	v_pk_add_f32 v[2:3], v[90:91], v[92:93]
	v_pk_add_f32 v[38:39], v[90:91], v[92:93] neg_lo:[0,1] neg_hi:[0,1]
	v_pk_fma_f32 v[2:3], v[2:3], 0.5, v[42:43] op_sel_hi:[1,0,1] neg_lo:[1,0,0] neg_hi:[1,0,0]
	v_pk_mul_f32 v[38:39], v[38:39], s[8:9] op_sel_hi:[1,0]
	s_movk_i32 s9, 0x50
	v_pk_add_f32 v[40:41], v[2:3], v[38:39] op_sel:[0,1] op_sel_hi:[1,0]
	v_pk_add_f32 v[2:3], v[2:3], v[38:39] op_sel:[0,1] op_sel_hi:[1,0] neg_lo:[0,1] neg_hi:[0,1]
	v_mov_b32_e32 v38, v40
	v_mov_b32_e32 v39, v3
	;; [unrolled: 1-line block ×3, first 2 shown]
	ds_write_b64 v118, v[2:3] offset:272
	v_pk_add_f32 v[2:3], v[44:45], v[82:83]
	ds_write2_b64 v118, v[94:95], v[38:39] offset1:17
	v_pk_add_f32 v[2:3], v[2:3], v[84:85]
	v_mov_b32_e32 v38, v88
	v_mov_b32_e32 v39, v87
	ds_write2_b64 v117, v[2:3], v[38:39] offset1:17
	v_pk_add_f32 v[2:3], v[34:35], v[66:67]
	v_mov_b32_e32 v87, v89
	v_pk_add_f32 v[2:3], v[2:3], v[68:69]
	v_mov_b32_e32 v34, v80
	v_mov_b32_e32 v35, v79
	ds_write_b64 v117, v[86:87] offset:272
	ds_write2_b64 v116, v[2:3], v[34:35] offset1:17
	v_pk_add_f32 v[2:3], v[36:37], v[60:61]
	v_mov_b32_e32 v79, v81
	v_pk_add_f32 v[2:3], v[2:3], v[62:63]
	v_mov_b32_e32 v34, v32
	v_mov_b32_e32 v35, v65
	ds_write_b64 v116, v[78:79] offset:272
	;; [unrolled: 7-line block ×4, first 2 shown]
	ds_write2_b64 v77, v[2:3], v[4:5] offset1:17
	v_mov_b32_e32 v21, v23
	v_mov_b32_e32 v2, v14
	;; [unrolled: 1-line block ×3, first 2 shown]
	v_mov_b64_e32 v[92:93], s[0:1]
	ds_write_b64 v77, v[20:21] offset:272
	ds_write2_b64 v235, v[0:1], v[2:3] offset1:17
	v_mov_b32_e32 v13, v15
	v_mad_u64_u32 v[0:1], s[14:15], v102, s9, v[92:93]
	v_accvgpr_write_b32 a112, v110
	v_accvgpr_write_b32 a111, v109
	;; [unrolled: 1-line block ×3, first 2 shown]
	scratch_store_dword off, v117, off offset:20 ; 4-byte Folded Spill
	scratch_store_dword off, v116, off offset:16 ; 4-byte Folded Spill
	scratch_store_dword off, v103, off offset:12 ; 4-byte Folded Spill
	scratch_store_dword off, v101, off offset:8 ; 4-byte Folded Spill
	scratch_store_dword off, v77, off offset:4 ; 4-byte Folded Spill
	ds_write_b64 v235, v[12:13] offset:272
	s_waitcnt lgkmcnt(0)
	; wave barrier
	s_waitcnt lgkmcnt(0)
	global_load_dwordx4 v[108:111], v[0:1], off offset:272
	global_load_dwordx4 v[60:63], v[0:1], off offset:288
	;; [unrolled: 1-line block ×5, first 2 shown]
	ds_read2_b64 v[12:15], v100 offset0:102 offset1:153
	ds_read2_b64 v[18:21], v70 offset0:50 offset1:101
	ds_read2_b64 v[38:41], v70 offset0:152 offset1:203
	v_accvgpr_write_b32 a117, v115
	v_accvgpr_write_b32 a116, v114
	;; [unrolled: 1-line block ×4, first 2 shown]
	s_mov_b32 s14, 0xbf0a6770
	s_mov_b32 s15, 0x3f575c64
	;; [unrolled: 1-line block ×36, first 2 shown]
	s_movk_i32 s33, 0xa1
	s_mov_b32 s56, s17
	s_mov_b32 s54, s19
	;; [unrolled: 1-line block ×4, first 2 shown]
	v_accvgpr_write_b32 a126, v131
	v_accvgpr_write_b32 a3, v129
	;; [unrolled: 1-line block ×5, first 2 shown]
	s_waitcnt vmcnt(4) lgkmcnt(2)
	v_mul_f32_e32 v0, v15, v109
	s_waitcnt vmcnt(3) lgkmcnt(0)
	v_pk_mul_f32 v[80:81], v[40:41], v[60:61] op_sel:[0,1]
	v_mul_f32_e32 v66, v14, v109
	v_pk_fma_f32 v[82:83], v[40:41], v[60:61], v[80:81] op_sel:[0,0,1] op_sel_hi:[1,0,0] neg_lo:[0,0,1] neg_hi:[0,0,1]
	v_pk_fma_f32 v[80:81], v[40:41], v[60:61], v[80:81] op_sel:[0,0,1] op_sel_hi:[1,0,0]
	v_mov_b32_e32 v40, v63
	v_fma_f32 v64, v14, v108, -v0
	v_fmac_f32_e32 v66, v15, v108
	ds_read2_b64 v[14:17], v100 offset1:51
	ds_read2_b64 v[34:37], v73 offset0:100 offset1:151
	ds_read2_b64 v[50:53], v73 offset0:202 offset1:253
	;; [unrolled: 1-line block ×7, first 2 shown]
	s_waitcnt lgkmcnt(6)
	v_pk_mul_f32 v[86:87], v[34:35], v[40:41] op_sel_hi:[1,0]
	v_mov_b32_e32 v112, v111
	v_pk_fma_f32 v[88:89], v[34:35], v[62:63], v[86:87] op_sel:[0,0,1] op_sel_hi:[1,0,0] neg_lo:[0,0,1] neg_hi:[0,0,1]
	v_pk_fma_f32 v[86:87], v[34:35], v[62:63], v[86:87] op_sel:[0,0,1] op_sel_hi:[1,0,0]
	s_waitcnt vmcnt(2) lgkmcnt(5)
	v_pk_mul_f32 v[34:35], v[52:53], v[56:57] op_sel:[0,1]
	v_pk_mul_f32 v[68:69], v[18:19], v[112:113] op_sel_hi:[1,0]
	v_pk_fma_f32 v[94:95], v[52:53], v[56:57], v[34:35] op_sel:[0,0,1] op_sel_hi:[1,0,0] neg_lo:[0,0,1] neg_hi:[0,0,1]
	v_pk_fma_f32 v[52:53], v[52:53], v[56:57], v[34:35] op_sel:[0,0,1] op_sel_hi:[1,0,0]
	v_mov_b32_e32 v34, v59
	s_waitcnt lgkmcnt(4)
	v_pk_mul_f32 v[98:99], v[30:31], v[34:35] op_sel_hi:[1,0]
	v_pk_fma_f32 v[78:79], v[18:19], v[110:111], v[68:69] op_sel:[0,0,1] op_sel_hi:[1,0,0] neg_lo:[0,0,1] neg_hi:[0,0,1]
	v_pk_fma_f32 v[104:105], v[30:31], v[58:59], v[98:99] op_sel:[0,0,1] op_sel_hi:[1,0,0] neg_lo:[0,0,1] neg_hi:[0,0,1]
	v_pk_fma_f32 v[98:99], v[30:31], v[58:59], v[98:99] op_sel:[0,0,1] op_sel_hi:[1,0,0]
	s_waitcnt vmcnt(1) lgkmcnt(3)
	v_pk_mul_f32 v[30:31], v[48:49], v[8:9] op_sel:[0,1]
	v_pk_fma_f32 v[68:69], v[18:19], v[110:111], v[68:69] op_sel:[0,0,1] op_sel_hi:[1,0,0]
	v_pk_fma_f32 v[120:121], v[48:49], v[8:9], v[30:31] op_sel:[0,0,1] op_sel_hi:[1,0,0] neg_lo:[0,0,1] neg_hi:[0,0,1]
	v_pk_fma_f32 v[48:49], v[48:49], v[8:9], v[30:31] op_sel:[0,0,1] op_sel_hi:[1,0,0]
	v_mov_b32_e32 v30, v11
	s_waitcnt lgkmcnt(2)
	v_pk_mul_f32 v[124:125], v[26:27], v[30:31] op_sel_hi:[1,0]
	v_mov_b32_e32 v65, v66
	v_pk_fma_f32 v[126:127], v[26:27], v[10:11], v[124:125] op_sel:[0,0,1] op_sel_hi:[1,0,0] neg_lo:[0,0,1] neg_hi:[0,0,1]
	v_pk_fma_f32 v[124:125], v[26:27], v[10:11], v[124:125] op_sel:[0,0,1] op_sel_hi:[1,0,0]
	s_waitcnt vmcnt(0) lgkmcnt(1)
	v_pk_mul_f32 v[26:27], v[44:45], v[4:5] op_sel:[0,1]
	v_mov_b32_e32 v18, v78
	v_pk_fma_f32 v[146:147], v[44:45], v[4:5], v[26:27] op_sel:[0,0,1] op_sel_hi:[1,0,0] neg_lo:[0,0,1] neg_hi:[0,0,1]
	v_pk_fma_f32 v[44:45], v[44:45], v[4:5], v[26:27] op_sel:[0,0,1] op_sel_hi:[1,0,0]
	v_mov_b32_e32 v26, v7
	v_mov_b32_e32 v19, v69
	s_waitcnt lgkmcnt(0)
	v_pk_mul_f32 v[150:151], v[22:23], v[26:27] op_sel_hi:[1,0]
	v_pk_add_f32 v[154:155], v[14:15], v[64:65]
	v_mov_b32_e32 v84, v82
	v_mov_b32_e32 v85, v81
	v_pk_fma_f32 v[152:153], v[22:23], v[6:7], v[150:151] op_sel:[0,0,1] op_sel_hi:[1,0,0] neg_lo:[0,0,1] neg_hi:[0,0,1]
	v_pk_add_f32 v[18:19], v[154:155], v[18:19]
	v_pk_fma_f32 v[22:23], v[22:23], v[6:7], v[150:151] op_sel:[0,0,1] op_sel_hi:[1,0,0]
	v_pk_add_f32 v[18:19], v[18:19], v[84:85]
	v_pk_add_f32 v[84:85], v[64:65], v[152:153]
	v_pk_add_f32 v[64:65], v[64:65], v[152:153] neg_lo:[0,1] neg_hi:[0,1]
	v_mov_b32_e32 v150, v152
	v_mov_b32_e32 v85, v64
	v_pk_add_f32 v[64:65], v[66:67], v[22:23] op_sel:[0,1] neg_lo:[0,1] neg_hi:[0,1]
	v_pk_add_f32 v[152:153], v[66:67], v[22:23] op_sel_hi:[0,1]
	v_pk_add_f32 v[66:67], v[78:79], v[146:147]
	v_pk_add_f32 v[78:79], v[78:79], v[146:147] neg_lo:[0,1] neg_hi:[0,1]
	v_mov_b32_e32 v152, v64
	v_pk_mul_f32 v[156:157], v[84:85], s[34:35]
	v_mov_b32_e32 v67, v78
	v_pk_add_f32 v[78:79], v[68:69], v[44:45] neg_lo:[0,1] neg_hi:[0,1]
	v_pk_add_f32 v[158:159], v[68:69], v[44:45]
	v_mov_b32_e32 v151, v23
	v_pk_fma_f32 v[22:23], v[64:65], s[14:15], v[156:157] neg_lo:[1,0,0] neg_hi:[1,0,0]
	v_pk_fma_f32 v[154:155], v[152:153], s[14:15], v[156:157]
	v_mov_b32_e32 v158, v79
	v_pk_mul_f32 v[162:163], v[66:67], s[46:47]
	v_mov_b32_e32 v149, v45
	v_mov_b32_e32 v23, v155
	v_pk_fma_f32 v[44:45], v[78:79], s[16:17], v[162:163] op_sel:[1,0,0] neg_lo:[1,0,0] neg_hi:[1,0,0]
	v_pk_fma_f32 v[160:161], v[158:159], s[16:17], v[162:163]
	v_pk_add_f32 v[22:23], v[14:15], v[22:23]
	v_mov_b32_e32 v45, v161
	v_pk_add_f32 v[22:23], v[44:45], v[22:23]
	v_pk_add_f32 v[68:69], v[82:83], v[126:127]
	v_pk_add_f32 v[44:45], v[82:83], v[126:127] neg_lo:[0,1] neg_hi:[0,1]
	v_pk_add_f32 v[82:83], v[80:81], v[124:125] neg_lo:[0,1] neg_hi:[0,1]
	v_mov_b32_e32 v69, v44
	v_pk_add_f32 v[164:165], v[80:81], v[124:125]
	v_pk_mul_f32 v[168:169], v[68:69], s[30:31]
	v_mov_b32_e32 v164, v83
	v_pk_fma_f32 v[44:45], v[82:83], s[18:19], v[168:169] op_sel:[1,0,0] neg_lo:[1,0,0] neg_hi:[1,0,0]
	v_pk_fma_f32 v[166:167], v[164:165], s[18:19], v[168:169]
	v_pk_add_f32 v[80:81], v[88:89], v[120:121]
	v_mov_b32_e32 v45, v167
	v_pk_add_f32 v[22:23], v[44:45], v[22:23]
	v_pk_add_f32 v[44:45], v[88:89], v[120:121] neg_lo:[0,1] neg_hi:[0,1]
	v_mov_b32_e32 v90, v88
	v_mov_b32_e32 v81, v44
	v_pk_add_f32 v[88:89], v[86:87], v[48:49] neg_lo:[0,1] neg_hi:[0,1]
	v_pk_add_f32 v[170:171], v[86:87], v[48:49]
	v_pk_mul_f32 v[174:175], v[80:81], s[38:39]
	v_mov_b32_e32 v170, v89
	v_pk_fma_f32 v[44:45], v[88:89], s[20:21], v[174:175] op_sel:[1,0,0] neg_lo:[1,0,0] neg_hi:[1,0,0]
	v_pk_fma_f32 v[172:173], v[170:171], s[20:21], v[174:175]
	v_mov_b32_e32 v91, v87
	v_mov_b32_e32 v45, v173
	v_pk_add_f32 v[22:23], v[44:45], v[22:23]
	v_pk_add_f32 v[86:87], v[94:95], v[104:105]
	v_pk_add_f32 v[44:45], v[94:95], v[104:105] neg_lo:[0,1] neg_hi:[0,1]
	v_pk_add_f32 v[18:19], v[18:19], v[90:91]
	v_mov_b32_e32 v87, v44
	v_pk_add_f32 v[90:91], v[52:53], v[98:99] neg_lo:[0,1] neg_hi:[0,1]
	v_pk_add_f32 v[176:177], v[52:53], v[98:99]
	v_pk_mul_f32 v[180:181], v[86:87], s[40:41]
	v_mov_b32_e32 v176, v91
	v_mov_b32_e32 v96, v94
	;; [unrolled: 1-line block ×3, first 2 shown]
	v_pk_fma_f32 v[44:45], v[90:91], s[22:23], v[180:181] op_sel:[1,0,0] neg_lo:[1,0,0] neg_hi:[1,0,0]
	v_pk_fma_f32 v[178:179], v[176:177], s[22:23], v[180:181]
	v_pk_add_f32 v[18:19], v[18:19], v[96:97]
	v_mov_b32_e32 v45, v179
	v_pk_mul_f32 v[96:97], v[84:85], s[46:47]
	v_mov_b32_e32 v106, v104
	v_mov_b32_e32 v107, v99
	v_pk_add_f32 v[22:23], v[44:45], v[22:23]
	v_pk_fma_f32 v[44:45], v[64:65], s[16:17], v[96:97] neg_lo:[1,0,0] neg_hi:[1,0,0]
	v_pk_fma_f32 v[104:105], v[152:153], s[16:17], v[96:97]
	v_pk_mul_f32 v[98:99], v[66:67], s[38:39]
	v_mov_b32_e32 v123, v49
	v_pk_add_f32 v[18:19], v[18:19], v[106:107]
	v_mov_b32_e32 v45, v105
	v_pk_fma_f32 v[48:49], v[78:79], s[20:21], v[98:99] op_sel:[1,0,0] neg_lo:[1,0,0] neg_hi:[1,0,0]
	v_pk_fma_f32 v[106:107], v[158:159], s[20:21], v[98:99]
	v_pk_add_f32 v[44:45], v[14:15], v[44:45]
	v_mov_b32_e32 v49, v107
	v_pk_mul_f32 v[186:187], v[68:69], s[50:51]
	v_pk_add_f32 v[44:45], v[48:49], v[44:45]
	v_pk_fma_f32 v[48:49], v[82:83], s[24:25], v[186:187] op_sel:[1,0,0] neg_lo:[1,0,0] neg_hi:[1,0,0]
	v_pk_fma_f32 v[184:185], v[164:165], s[24:25], v[186:187]
	v_pk_mul_f32 v[194:195], v[80:81], s[48:49]
	v_mov_b32_e32 v49, v185
	v_pk_add_f32 v[44:45], v[48:49], v[44:45]
	v_pk_fma_f32 v[48:49], v[88:89], s[26:27], v[194:195] op_sel:[1,0,0] neg_lo:[1,0,0] neg_hi:[1,0,0]
	v_pk_fma_f32 v[182:183], v[170:171], s[26:27], v[194:195]
	v_mov_b32_e32 v122, v120
	v_mov_b32_e32 v49, v183
	v_pk_mul_f32 v[190:191], v[86:87], s[42:43]
	v_mov_b32_e32 v138, v126
	v_mov_b32_e32 v139, v125
	v_pk_add_f32 v[18:19], v[18:19], v[122:123]
	v_pk_add_f32 v[44:45], v[48:49], v[44:45]
	v_pk_fma_f32 v[48:49], v[90:91], s[28:29], v[190:191] op_sel:[1,0,0] neg_lo:[1,0,0] neg_hi:[1,0,0]
	v_pk_fma_f32 v[188:189], v[176:177], s[28:29], v[190:191]
	v_pk_add_f32 v[18:19], v[18:19], v[138:139]
	v_mov_b32_e32 v49, v189
	v_pk_mul_f32 v[138:139], v[84:85], s[30:31]
	v_pk_add_f32 v[44:45], v[48:49], v[44:45]
	v_pk_fma_f32 v[48:49], v[64:65], s[18:19], v[138:139] neg_lo:[1,0,0] neg_hi:[1,0,0]
	v_pk_fma_f32 v[120:121], v[152:153], s[18:19], v[138:139]
	v_pk_mul_f32 v[202:203], v[66:67], s[50:51]
	v_mov_b32_e32 v49, v121
	v_pk_fma_f32 v[52:53], v[78:79], s[24:25], v[202:203] op_sel:[1,0,0] neg_lo:[1,0,0] neg_hi:[1,0,0]
	v_pk_fma_f32 v[200:201], v[158:159], s[24:25], v[202:203]
	v_pk_add_f32 v[48:49], v[14:15], v[48:49]
	v_mov_b32_e32 v53, v201
	v_pk_mul_f32 v[122:123], v[68:69], s[44:45]
	v_pk_add_f32 v[48:49], v[52:53], v[48:49]
	v_pk_fma_f32 v[52:53], v[82:83], s[36:37], v[122:123] op_sel:[1,0,0] neg_lo:[1,0,0] neg_hi:[1,0,0]
	v_pk_fma_f32 v[198:199], v[164:165], s[36:37], v[122:123]
	v_pk_mul_f32 v[124:125], v[80:81], s[34:35]
	v_mov_b32_e32 v53, v199
	v_pk_add_f32 v[48:49], v[52:53], v[48:49]
	v_pk_fma_f32 v[52:53], v[88:89], s[14:15], v[124:125] op_sel:[1,0,0] neg_lo:[1,0,0] neg_hi:[1,0,0]
	v_pk_fma_f32 v[126:127], v[170:171], s[14:15], v[124:125]
	v_mov_b32_e32 v148, v146
	v_mov_b32_e32 v53, v127
	v_pk_mul_f32 v[94:95], v[86:87], s[38:39]
	v_pk_add_f32 v[18:19], v[18:19], v[148:149]
	v_pk_add_f32 v[48:49], v[52:53], v[48:49]
	v_pk_fma_f32 v[52:53], v[90:91], s[20:21], v[94:95] op_sel:[1,0,0] neg_lo:[1,0,0] neg_hi:[1,0,0]
	v_pk_fma_f32 v[196:197], v[176:177], s[20:21], v[94:95]
	v_pk_add_f32 v[18:19], v[18:19], v[150:151]
	v_mov_b32_e32 v53, v197
	v_pk_mul_f32 v[150:151], v[84:85], s[38:39]
	v_pk_mul_f32 v[84:85], v[84:85], s[40:41]
	v_pk_add_f32 v[48:49], v[52:53], v[48:49]
	v_pk_fma_f32 v[52:53], v[64:65], s[20:21], v[150:151] neg_lo:[1,0,0] neg_hi:[1,0,0]
	v_pk_fma_f32 v[204:205], v[152:153], s[20:21], v[150:151]
	v_pk_mul_f32 v[206:207], v[66:67], s[48:49]
	v_pk_fma_f32 v[64:65], v[64:65], s[22:23], v[84:85] neg_lo:[1,0,0] neg_hi:[1,0,0]
	v_pk_fma_f32 v[148:149], v[152:153], s[22:23], v[84:85]
	v_pk_mul_f32 v[66:67], v[66:67], s[42:43]
	v_mov_b32_e32 v53, v205
	v_pk_fma_f32 v[146:147], v[78:79], s[26:27], v[206:207] op_sel:[1,0,0] neg_lo:[1,0,0] neg_hi:[1,0,0]
	v_pk_fma_f32 v[208:209], v[158:159], s[26:27], v[206:207]
	v_mov_b32_e32 v65, v149
	v_pk_fma_f32 v[78:79], v[78:79], s[28:29], v[66:67] op_sel:[1,0,0] neg_lo:[1,0,0] neg_hi:[1,0,0]
	v_pk_fma_f32 v[222:223], v[158:159], s[28:29], v[66:67]
	v_pk_add_f32 v[52:53], v[14:15], v[52:53]
	v_mov_b32_e32 v147, v209
	v_pk_mul_f32 v[210:211], v[68:69], s[34:35]
	v_pk_add_f32 v[64:65], v[14:15], v[64:65]
	v_mov_b32_e32 v79, v223
	v_pk_mul_f32 v[68:69], v[68:69], s[38:39]
	v_pk_add_f32 v[52:53], v[146:147], v[52:53]
	v_pk_fma_f32 v[146:147], v[82:83], s[14:15], v[210:211] op_sel:[1,0,0] neg_lo:[1,0,0] neg_hi:[1,0,0]
	v_pk_add_f32 v[64:65], v[78:79], v[64:65]
	v_pk_fma_f32 v[78:79], v[82:83], s[20:21], v[68:69] op_sel:[1,0,0] neg_lo:[1,0,0] neg_hi:[1,0,0]
	v_pk_fma_f32 v[82:83], v[164:165], s[20:21], v[68:69]
	v_pk_fma_f32 v[212:213], v[164:165], s[14:15], v[210:211]
	v_mov_b32_e32 v79, v83
	v_mov_b32_e32 v147, v213
	v_pk_mul_f32 v[214:215], v[80:81], s[40:41]
	v_pk_add_f32 v[64:65], v[78:79], v[64:65]
	v_pk_mul_f32 v[78:79], v[80:81], s[44:45]
	v_pk_add_f32 v[52:53], v[146:147], v[52:53]
	v_pk_fma_f32 v[146:147], v[88:89], s[22:23], v[214:215] op_sel:[1,0,0] neg_lo:[1,0,0] neg_hi:[1,0,0]
	v_pk_fma_f32 v[80:81], v[88:89], s[36:37], v[78:79] op_sel:[1,0,0] neg_lo:[1,0,0] neg_hi:[1,0,0]
	v_pk_fma_f32 v[88:89], v[170:171], s[36:37], v[78:79]
	v_pk_fma_f32 v[216:217], v[170:171], s[22:23], v[214:215]
	v_mov_b32_e32 v81, v89
	v_mov_b32_e32 v147, v217
	v_pk_mul_f32 v[218:219], v[86:87], s[44:45]
	v_pk_add_f32 v[64:65], v[80:81], v[64:65]
	v_pk_mul_f32 v[80:81], v[86:87], s[30:31]
	v_pk_add_f32 v[52:53], v[146:147], v[52:53]
	v_pk_fma_f32 v[146:147], v[90:91], s[36:37], v[218:219] op_sel:[1,0,0] neg_lo:[1,0,0] neg_hi:[1,0,0]
	v_pk_fma_f32 v[220:221], v[176:177], s[36:37], v[218:219]
	v_pk_fma_f32 v[86:87], v[90:91], s[18:19], v[80:81] op_sel:[1,0,0] neg_lo:[1,0,0] neg_hi:[1,0,0]
	v_pk_fma_f32 v[90:91], v[176:177], s[18:19], v[80:81]
	v_mov_b32_e32 v147, v221
	v_mov_b32_e32 v87, v91
	v_pk_add_f32 v[52:53], v[146:147], v[52:53]
	v_pk_add_f32 v[146:147], v[86:87], v[64:65]
	v_pk_fma_f32 v[64:65], v[152:153], s[22:23], v[84:85] neg_lo:[0,0,1] neg_hi:[0,0,1]
	v_mul_lo_u16_sdwa v0, v144, s33 dst_sel:DWORD dst_unused:UNUSED_PAD src0_sel:BYTE_0 src1_sel:DWORD
	v_mov_b32_e32 v149, v65
	v_pk_fma_f32 v[64:65], v[158:159], s[28:29], v[66:67] neg_lo:[0,0,1] neg_hi:[0,0,1]
	v_pk_fma_f32 v[66:67], v[164:165], s[20:21], v[68:69] neg_lo:[0,0,1] neg_hi:[0,0,1]
	v_mov_b32_e32 v223, v65
	v_pk_add_f32 v[64:65], v[14:15], v[148:149]
	v_mov_b32_e32 v83, v67
	v_pk_add_f32 v[64:65], v[222:223], v[64:65]
	v_pk_fma_f32 v[66:67], v[170:171], s[36:37], v[78:79] neg_lo:[0,0,1] neg_hi:[0,0,1]
	v_pk_add_f32 v[64:65], v[82:83], v[64:65]
	v_mov_b32_e32 v89, v67
	v_pk_fma_f32 v[66:67], v[176:177], s[18:19], v[80:81] neg_lo:[0,0,1] neg_hi:[0,0,1]
	v_pk_add_f32 v[64:65], v[88:89], v[64:65]
	v_mov_b32_e32 v91, v67
	v_pk_add_f32 v[148:149], v[90:91], v[64:65]
	v_pk_fma_f32 v[64:65], v[152:153], s[20:21], v[150:151] neg_lo:[0,0,1] neg_hi:[0,0,1]
	v_pk_fma_f32 v[66:67], v[164:165], s[14:15], v[210:211] neg_lo:[0,0,1] neg_hi:[0,0,1]
	v_mov_b32_e32 v205, v65
	v_pk_fma_f32 v[64:65], v[158:159], s[26:27], v[206:207] neg_lo:[0,0,1] neg_hi:[0,0,1]
	v_mov_b32_e32 v213, v67
	v_mov_b32_e32 v209, v65
	v_pk_add_f32 v[64:65], v[14:15], v[204:205]
	v_pk_fma_f32 v[66:67], v[170:171], s[22:23], v[214:215] neg_lo:[0,0,1] neg_hi:[0,0,1]
	v_pk_add_f32 v[64:65], v[208:209], v[64:65]
	v_mov_b32_e32 v217, v67
	v_pk_add_f32 v[64:65], v[212:213], v[64:65]
	v_pk_fma_f32 v[66:67], v[176:177], s[36:37], v[218:219] neg_lo:[0,0,1] neg_hi:[0,0,1]
	v_pk_add_f32 v[64:65], v[216:217], v[64:65]
	v_mov_b32_e32 v221, v67
	v_lshrrev_b16_e32 v0, 13, v0
	v_pk_add_f32 v[150:151], v[220:221], v[64:65]
	v_pk_fma_f32 v[64:65], v[152:153], s[18:19], v[138:139] neg_lo:[0,0,1] neg_hi:[0,0,1]
	v_mul_lo_u16_e32 v0, 51, v0
	v_mov_b32_e32 v121, v65
	v_pk_fma_f32 v[64:65], v[158:159], s[24:25], v[202:203] neg_lo:[0,0,1] neg_hi:[0,0,1]
	v_sub_u16_e32 v0, v144, v0
	v_mov_b32_e32 v201, v65
	v_pk_add_f32 v[64:65], v[14:15], v[120:121]
	v_and_b32_e32 v27, 0xff, v0
	v_pk_fma_f32 v[68:69], v[164:165], s[36:37], v[122:123] neg_lo:[0,0,1] neg_hi:[0,0,1]
	v_pk_add_f32 v[66:67], v[200:201], v[64:65]
	v_mad_u64_u32 v[64:65], s[52:53], v27, s9, v[92:93]
	v_mov_b32_e32 v199, v69
	v_pk_add_f32 v[66:67], v[198:199], v[66:67]
	global_load_dwordx4 v[198:201], v[64:65], off offset:272
	v_pk_fma_f32 v[68:69], v[170:171], s[14:15], v[124:125] neg_lo:[0,0,1] neg_hi:[0,0,1]
	global_load_dwordx4 v[0:3], v[64:65], off offset:304
	global_load_dwordx4 v[114:117], v[64:65], off offset:320
	v_mov_b32_e32 v127, v69
	v_pk_add_f32 v[66:67], v[126:127], v[66:67]
	global_load_dwordx4 v[124:127], v[64:65], off offset:288
	v_pk_fma_f32 v[68:69], v[176:177], s[20:21], v[94:95] neg_lo:[0,0,1] neg_hi:[0,0,1]
	ds_read2_b64 v[78:81], v100 offset0:204 offset1:255
	v_mov_b32_e32 v197, v69
	v_pk_add_f32 v[68:69], v[196:197], v[66:67]
	v_pk_fma_f32 v[66:67], v[152:153], s[16:17], v[96:97] neg_lo:[0,0,1] neg_hi:[0,0,1]
	s_mov_b32 s52, s15
	v_mov_b32_e32 v105, v67
	v_pk_fma_f32 v[66:67], v[158:159], s[20:21], v[98:99] neg_lo:[0,0,1] neg_hi:[0,0,1]
	s_movk_i32 s9, 0x1000
	v_mov_b32_e32 v107, v67
	v_pk_add_f32 v[66:67], v[14:15], v[104:105]
	v_accvgpr_write_b32 a49, v11
	v_pk_add_f32 v[66:67], v[106:107], v[66:67]
	global_load_dwordx4 v[104:107], v[64:65], off offset:336
	v_pk_fma_f32 v[64:65], v[164:165], s[24:25], v[186:187] neg_lo:[0,0,1] neg_hi:[0,0,1]
	v_accvgpr_write_b32 a48, v10
	v_mov_b32_e32 v185, v65
	v_pk_add_f32 v[64:65], v[184:185], v[66:67]
	v_pk_fma_f32 v[66:67], v[170:171], s[26:27], v[194:195] neg_lo:[0,0,1] neg_hi:[0,0,1]
	v_accvgpr_write_b32 a47, v9
	v_mov_b32_e32 v183, v67
	v_pk_add_f32 v[64:65], v[182:183], v[64:65]
	v_accvgpr_write_b32 a46, v8
	v_accvgpr_write_b32 a101, v63
	;; [unrolled: 1-line block ×12, first 2 shown]
	s_waitcnt vmcnt(4)
	v_mov_b32_e32 v66, v199
	s_waitcnt lgkmcnt(0)
	v_pk_mul_f32 v[82:83], v[80:81], v[198:199] op_sel:[1,0] op_sel_hi:[0,1]
	v_pk_mul_f32 v[66:67], v[80:81], v[66:67] op_sel:[1,0] op_sel_hi:[0,1]
	v_mov_b32_e32 v82, v83
	v_pk_fma_f32 v[66:67], v[80:81], v[198:199], v[66:67] neg_lo:[0,0,1] neg_hi:[0,0,1]
	v_pk_fma_f32 v[96:97], v[80:81], v[198:199], v[82:83] op_sel:[1,0,0] op_sel_hi:[0,1,1]
	v_pk_fma_f32 v[80:81], v[176:177], s[28:29], v[190:191] neg_lo:[0,0,1] neg_hi:[0,0,1]
	s_waitcnt vmcnt(3)
	v_accvgpr_write_b32 a149, v3
	v_mov_b32_e32 v189, v81
	v_pk_add_f32 v[98:99], v[188:189], v[64:65]
	v_pk_fma_f32 v[64:65], v[152:153], s[14:15], v[156:157] neg_lo:[0,0,1] neg_hi:[0,0,1]
	v_accvgpr_write_b32 a148, v2
	v_mov_b32_e32 v155, v65
	v_pk_fma_f32 v[64:65], v[158:159], s[16:17], v[162:163] neg_lo:[0,0,1] neg_hi:[0,0,1]
	v_pk_add_f32 v[14:15], v[14:15], v[154:155]
	v_mov_b32_e32 v161, v65
	v_pk_fma_f32 v[64:65], v[164:165], s[18:19], v[168:169] neg_lo:[0,0,1] neg_hi:[0,0,1]
	v_pk_add_f32 v[14:15], v[160:161], v[14:15]
	v_mov_b32_e32 v167, v65
	v_pk_fma_f32 v[64:65], v[170:171], s[20:21], v[174:175] neg_lo:[0,0,1] neg_hi:[0,0,1]
	v_pk_add_f32 v[14:15], v[166:167], v[14:15]
	v_mov_b32_e32 v173, v65
	v_pk_fma_f32 v[64:65], v[176:177], s[22:23], v[180:181] neg_lo:[0,0,1] neg_hi:[0,0,1]
	v_pk_add_f32 v[14:15], v[172:173], v[14:15]
	v_mov_b32_e32 v64, v201
	v_mov_b32_e32 v179, v65
	v_pk_mul_f32 v[64:65], v[38:39], v[64:65] op_sel_hi:[1,0]
	v_pk_add_f32 v[120:121], v[178:179], v[14:15]
	ds_read2_b64 v[80:83], v75 offset0:126 offset1:177
	ds_read2_b64 v[84:87], v71 offset0:48 offset1:99
	;; [unrolled: 1-line block ×4, first 2 shown]
	ds_read_b64 v[14:15], v100 offset:13056
	v_pk_fma_f32 v[122:123], v[38:39], v[200:201], v[64:65] op_sel:[0,0,1] op_sel_hi:[1,1,0] neg_lo:[0,0,1] neg_hi:[0,0,1]
	v_pk_fma_f32 v[38:39], v[38:39], v[200:201], v[64:65] op_sel:[0,0,1] op_sel_hi:[1,0,0]
	v_accvgpr_write_b32 a147, v1
	v_mov_b32_e32 v123, v39
	s_waitcnt vmcnt(1) lgkmcnt(4)
	v_pk_mul_f32 v[38:39], v[82:83], v[124:125] op_sel:[0,1]
	v_accvgpr_write_b32 a146, v0
	v_pk_fma_f32 v[64:65], v[82:83], v[124:125], v[38:39] op_sel:[0,0,1] op_sel_hi:[1,1,0] neg_lo:[0,0,1] neg_hi:[0,0,1]
	v_pk_fma_f32 v[38:39], v[82:83], v[124:125], v[38:39] op_sel:[0,0,1] op_sel_hi:[1,0,0]
	s_waitcnt lgkmcnt(0)
	v_mov_b32_e32 v38, v127
	v_mov_b32_e32 v65, v39
	v_pk_mul_f32 v[38:39], v[50:51], v[38:39] op_sel_hi:[1,0]
	; wave barrier
	s_nop 0
	v_pk_fma_f32 v[82:83], v[50:51], v[126:127], v[38:39] op_sel:[0,0,1] op_sel_hi:[1,1,0] neg_lo:[0,0,1] neg_hi:[0,0,1]
	v_pk_fma_f32 v[38:39], v[50:51], v[126:127], v[38:39] op_sel:[0,0,1] op_sel_hi:[1,0,0]
	v_mov_b32_e32 v50, v66
	v_mov_b32_e32 v83, v39
	v_pk_mul_f32 v[38:39], v[86:87], v[0:1] op_sel:[0,1]
	v_mov_b32_e32 v51, v96
	v_pk_fma_f32 v[138:139], v[86:87], v[0:1], v[38:39] op_sel:[0,0,1] op_sel_hi:[1,1,0] neg_lo:[0,0,1] neg_hi:[0,0,1]
	v_pk_fma_f32 v[38:39], v[86:87], v[0:1], v[38:39] op_sel:[0,0,1] op_sel_hi:[1,0,0]
	v_pk_add_f32 v[50:51], v[12:13], v[50:51]
	v_mov_b32_e32 v38, v3
	v_mov_b32_e32 v139, v39
	v_pk_mul_f32 v[38:39], v[46:47], v[38:39] op_sel_hi:[1,0]
	v_pk_add_f32 v[50:51], v[50:51], v[122:123]
	v_pk_fma_f32 v[86:87], v[46:47], v[2:3], v[38:39] op_sel:[0,0,1] op_sel_hi:[1,1,0] neg_lo:[0,0,1] neg_hi:[0,0,1]
	v_pk_fma_f32 v[38:39], v[46:47], v[2:3], v[38:39] op_sel:[0,0,1] op_sel_hi:[1,0,0]
	v_pk_add_f32 v[50:51], v[50:51], v[64:65]
	v_mov_b32_e32 v87, v39
	v_pk_mul_f32 v[38:39], v[90:91], v[114:115] op_sel:[0,1]
	v_pk_add_f32 v[50:51], v[50:51], v[82:83]
	v_pk_fma_f32 v[164:165], v[90:91], v[114:115], v[38:39] op_sel:[0,0,1] op_sel_hi:[1,1,0] neg_lo:[0,0,1] neg_hi:[0,0,1]
	v_pk_fma_f32 v[38:39], v[90:91], v[114:115], v[38:39] op_sel:[0,0,1] op_sel_hi:[1,0,0]
	v_pk_add_f32 v[50:51], v[50:51], v[138:139]
	v_mov_b32_e32 v38, v117
	v_mov_b32_e32 v165, v39
	v_pk_mul_f32 v[38:39], v[42:43], v[38:39] op_sel_hi:[1,0]
	v_pk_add_f32 v[50:51], v[50:51], v[86:87]
	v_pk_fma_f32 v[90:91], v[42:43], v[116:117], v[38:39] op_sel:[0,0,1] op_sel_hi:[1,1,0] neg_lo:[0,0,1] neg_hi:[0,0,1]
	v_pk_fma_f32 v[38:39], v[42:43], v[116:117], v[38:39] op_sel:[0,0,1] op_sel_hi:[1,0,0]
	v_pk_add_f32 v[50:51], v[50:51], v[164:165]
	v_mov_b32_e32 v91, v39
	s_waitcnt vmcnt(0)
	v_pk_mul_f32 v[38:39], v[94:95], v[104:105] op_sel:[0,1]
	v_pk_add_f32 v[50:51], v[50:51], v[90:91]
	v_pk_fma_f32 v[42:43], v[94:95], v[104:105], v[38:39] op_sel:[0,0,1] op_sel_hi:[1,1,0] neg_lo:[0,0,1] neg_hi:[0,0,1]
	v_pk_fma_f32 v[38:39], v[94:95], v[104:105], v[38:39] op_sel:[0,0,1] op_sel_hi:[1,0,0]
	v_pk_add_f32 v[158:159], v[64:65], v[90:91] neg_lo:[0,1] neg_hi:[0,1]
	v_mov_b32_e32 v38, v107
	v_mov_b32_e32 v43, v39
	v_pk_mul_f32 v[38:39], v[14:15], v[38:39] op_sel_hi:[1,0]
	v_pk_add_f32 v[50:51], v[50:51], v[42:43]
	v_pk_fma_f32 v[46:47], v[14:15], v[106:107], v[38:39] op_sel:[0,0,1] op_sel_hi:[1,0,0] neg_lo:[0,0,1] neg_hi:[0,0,1]
	v_pk_fma_f32 v[38:39], v[14:15], v[106:107], v[38:39] op_sel:[0,0,1] op_sel_hi:[1,0,0]
	v_mov_b32_e32 v14, v46
	v_mov_b32_e32 v15, v39
	v_pk_add_f32 v[156:157], v[50:51], v[14:15]
	v_mov_b32_e32 v15, v96
	v_pk_add_f32 v[152:153], v[66:67], v[46:47]
	v_pk_add_f32 v[14:15], v[14:15], v[38:39]
	v_pk_add_f32 v[162:163], v[66:67], v[46:47] neg_lo:[0,1] neg_hi:[0,1]
	v_pk_add_f32 v[50:51], v[122:123], v[42:43]
	v_pk_add_f32 v[160:161], v[122:123], v[42:43] neg_lo:[0,1] neg_hi:[0,1]
	;; [unrolled: 2-line block ×3, first 2 shown]
	v_pk_mul_f32 v[82:83], v[78:79], v[108:109] op_sel:[0,1]
	v_mov_b32_e32 v14, v39
	v_pk_add_f32 v[46:47], v[64:65], v[90:91]
	v_pk_add_f32 v[38:39], v[138:139], v[86:87]
	v_pk_add_f32 v[64:65], v[138:139], v[86:87] neg_lo:[0,1] neg_hi:[0,1]
	v_pk_fma_f32 v[86:87], v[78:79], v[108:109], v[82:83] op_sel:[0,0,1] op_sel_hi:[1,1,0] neg_lo:[0,0,1] neg_hi:[0,0,1]
	v_pk_fma_f32 v[78:79], v[78:79], v[108:109], v[82:83] op_sel:[0,0,1] op_sel_hi:[1,0,0]
	v_lshlrev_b32_e32 v1, 3, v27
	v_mov_b32_e32 v87, v79
	v_pk_mul_f32 v[78:79], v[20:21], v[112:113] op_sel_hi:[1,0]
	v_pk_add_f32 v[154:155], v[96:97], v[14:15] neg_lo:[0,1] neg_hi:[0,1]
	v_pk_fma_f32 v[82:83], v[20:21], v[110:111], v[78:79] op_sel:[0,0,1] op_sel_hi:[1,1,0] neg_lo:[0,0,1] neg_hi:[0,0,1]
	v_pk_fma_f32 v[20:21], v[20:21], v[110:111], v[78:79] op_sel:[0,0,1] op_sel_hi:[1,0,0]
	ds_write2_b64 v100, v[18:19], v[22:23] offset1:51
	v_mov_b32_e32 v83, v21
	v_pk_mul_f32 v[20:21], v[80:81], v[60:61] op_sel:[0,1]
	ds_write2_b64 v100, v[44:45], v[48:49] offset0:102 offset1:153
	ds_write2_b64 v100, v[52:53], v[146:147] offset0:204 offset1:255
	;; [unrolled: 1-line block ×4, first 2 shown]
	v_pk_fma_f32 v[78:79], v[80:81], v[60:61], v[20:21] op_sel:[0,0,1] op_sel_hi:[1,1,0] neg_lo:[0,0,1] neg_hi:[0,0,1]
	v_pk_fma_f32 v[20:21], v[80:81], v[60:61], v[20:21] op_sel:[0,0,1] op_sel_hi:[1,0,0]
	v_mov_b32_e32 v153, v162
	v_mov_b32_e32 v79, v21
	v_pk_mul_f32 v[20:21], v[36:37], v[40:41] op_sel_hi:[1,0]
	v_mov_b32_e32 v14, v154
	v_pk_fma_f32 v[40:41], v[36:37], v[62:63], v[20:21] op_sel:[0,0,1] op_sel_hi:[1,1,0] neg_lo:[0,0,1] neg_hi:[0,0,1]
	v_pk_fma_f32 v[20:21], v[36:37], v[62:63], v[20:21] op_sel:[0,0,1] op_sel_hi:[1,0,0]
	v_add_u32_e32 v0, 0x2000, v1
	v_mov_b32_e32 v41, v21
	v_pk_mul_f32 v[20:21], v[84:85], v[56:57] op_sel:[0,1]
	v_accvgpr_write_b32 a161, v107
	v_pk_fma_f32 v[36:37], v[84:85], v[56:57], v[20:21] op_sel:[0,0,1] op_sel_hi:[1,1,0] neg_lo:[0,0,1] neg_hi:[0,0,1]
	v_pk_fma_f32 v[20:21], v[84:85], v[56:57], v[20:21] op_sel:[0,0,1] op_sel_hi:[1,0,0]
	v_accvgpr_write_b32 a160, v106
	v_mov_b32_e32 v37, v21
	v_pk_mul_f32 v[20:21], v[32:33], v[34:35] op_sel_hi:[1,0]
	v_accvgpr_write_b32 a159, v105
	v_pk_fma_f32 v[34:35], v[32:33], v[58:59], v[20:21] op_sel:[0,0,1] op_sel_hi:[1,1,0] neg_lo:[0,0,1] neg_hi:[0,0,1]
	v_pk_fma_f32 v[20:21], v[32:33], v[58:59], v[20:21] op_sel:[0,0,1] op_sel_hi:[1,0,0]
	v_accvgpr_write_b32 a158, v104
	v_mov_b32_e32 v35, v21
	v_pk_mul_f32 v[20:21], v[88:89], v[8:9] op_sel:[0,1]
	v_pk_add_f32 v[180:181], v[36:37], v[34:35] neg_lo:[0,1] neg_hi:[0,1]
	v_pk_fma_f32 v[32:33], v[88:89], v[8:9], v[20:21] op_sel:[0,0,1] op_sel_hi:[1,1,0] neg_lo:[0,0,1] neg_hi:[0,0,1]
	v_pk_fma_f32 v[20:21], v[88:89], v[8:9], v[20:21] op_sel:[0,0,1] op_sel_hi:[1,0,0]
	v_pk_mul_f32 v[18:19], v[180:181], s[22:23] op_sel:[1,0] op_sel_hi:[0,0]
	v_mov_b32_e32 v33, v21
	v_pk_mul_f32 v[20:21], v[28:29], v[30:31] op_sel_hi:[1,0]
	v_pk_add_f32 v[172:173], v[40:41], v[32:33] neg_lo:[0,1] neg_hi:[0,1]
	v_pk_fma_f32 v[30:31], v[28:29], v[10:11], v[20:21] op_sel:[0,0,1] op_sel_hi:[1,1,0] neg_lo:[0,0,1] neg_hi:[0,0,1]
	v_pk_fma_f32 v[20:21], v[28:29], v[10:11], v[20:21] op_sel:[0,0,1] op_sel_hi:[1,0,0]
	v_pk_mul_f32 v[174:175], v[172:173], s[20:21] op_sel:[1,0] op_sel_hi:[0,0]
	v_mov_b32_e32 v31, v21
	v_pk_mul_f32 v[20:21], v[92:93], v[4:5] op_sel:[0,1]
	v_pk_add_f32 v[164:165], v[78:79], v[30:31] neg_lo:[0,1] neg_hi:[0,1]
	v_pk_fma_f32 v[28:29], v[92:93], v[4:5], v[20:21] op_sel:[0,0,1] op_sel_hi:[1,1,0] neg_lo:[0,0,1] neg_hi:[0,0,1]
	v_pk_fma_f32 v[20:21], v[92:93], v[4:5], v[20:21] op_sel:[0,0,1] op_sel_hi:[1,0,0]
	v_pk_mul_f32 v[166:167], v[164:165], s[18:19] op_sel:[1,0] op_sel_hi:[0,0]
	v_mov_b32_e32 v29, v21
	v_pk_mul_f32 v[20:21], v[24:25], v[26:27] op_sel_hi:[1,0]
	v_pk_add_f32 v[26:27], v[16:17], v[86:87]
	v_pk_fma_f32 v[80:81], v[24:25], v[6:7], v[20:21] op_sel:[0,0,1] op_sel_hi:[1,1,0] neg_lo:[0,0,1] neg_hi:[0,0,1]
	v_pk_fma_f32 v[20:21], v[24:25], v[6:7], v[20:21] op_sel:[0,0,1] op_sel_hi:[1,0,0]
	v_pk_add_f32 v[94:95], v[82:83], v[28:29] neg_lo:[0,1] neg_hi:[0,1]
	v_mov_b32_e32 v81, v21
	v_pk_add_f32 v[24:25], v[86:87], v[80:81] neg_lo:[0,1] neg_hi:[0,1]
	v_pk_add_f32 v[20:21], v[86:87], v[80:81]
	v_pk_mul_f32 v[84:85], v[24:25], s[14:15] op_sel:[1,0] op_sel_hi:[0,0]
	v_pk_add_f32 v[26:27], v[26:27], v[82:83]
	v_pk_fma_f32 v[88:89], v[20:21], s[52:53], v[84:85] op_sel_hi:[1,0,1]
	v_pk_fma_f32 v[84:85], v[20:21], s[52:53], v[84:85] op_sel_hi:[1,0,1] neg_lo:[0,0,1] neg_hi:[0,0,1]
	v_pk_add_f32 v[92:93], v[82:83], v[28:29]
	v_pk_mul_f32 v[96:97], v[94:95], s[16:17] op_sel:[1,0] op_sel_hi:[0,0]
	v_pk_add_f32 v[26:27], v[26:27], v[78:79]
	v_mov_b32_e32 v90, v88
	v_mov_b32_e32 v91, v85
	v_pk_fma_f32 v[122:123], v[92:93], s[56:57], v[96:97] op_sel_hi:[1,0,1]
	v_pk_fma_f32 v[96:97], v[92:93], s[56:57], v[96:97] op_sel_hi:[1,0,1] neg_lo:[0,0,1] neg_hi:[0,0,1]
	v_pk_add_f32 v[26:27], v[26:27], v[40:41]
	v_pk_add_f32 v[90:91], v[16:17], v[90:91]
	v_mov_b32_e32 v138, v122
	v_mov_b32_e32 v139, v97
	v_pk_add_f32 v[26:27], v[26:27], v[36:37]
	v_pk_add_f32 v[90:91], v[138:139], v[90:91]
	;; [unrolled: 1-line block ×4, first 2 shown]
	v_pk_fma_f32 v[168:169], v[138:139], s[54:55], v[166:167] op_sel_hi:[1,0,1]
	v_pk_fma_f32 v[166:167], v[138:139], s[54:55], v[166:167] op_sel_hi:[1,0,1] neg_lo:[0,0,1] neg_hi:[0,0,1]
	v_pk_add_f32 v[26:27], v[26:27], v[32:33]
	v_mov_b32_e32 v170, v168
	v_mov_b32_e32 v171, v167
	v_pk_add_f32 v[26:27], v[26:27], v[30:31]
	v_pk_add_f32 v[90:91], v[170:171], v[90:91]
	;; [unrolled: 1-line block ×4, first 2 shown]
	v_pk_fma_f32 v[176:177], v[170:171], s[58:59], v[174:175] op_sel_hi:[1,0,1]
	v_pk_fma_f32 v[174:175], v[170:171], s[58:59], v[174:175] op_sel_hi:[1,0,1] neg_lo:[0,0,1] neg_hi:[0,0,1]
	v_pk_add_f32 v[26:27], v[26:27], v[80:81]
	v_mov_b32_e32 v85, v89
	v_mov_b32_e32 v178, v176
	;; [unrolled: 1-line block ×3, first 2 shown]
	ds_write2_b64 v75, v[120:121], v[26:27] offset0:126 offset1:177
	v_pk_add_f32 v[26:27], v[16:17], v[84:85]
	v_mov_b32_e32 v97, v123
	v_pk_add_f32 v[90:91], v[178:179], v[90:91]
	v_pk_add_f32 v[178:179], v[36:37], v[34:35]
	;; [unrolled: 1-line block ×3, first 2 shown]
	v_mov_b32_e32 v167, v169
	v_pk_fma_f32 v[22:23], v[178:179], s[60:61], v[18:19] op_sel_hi:[1,0,1]
	v_pk_fma_f32 v[18:19], v[178:179], s[60:61], v[18:19] op_sel_hi:[1,0,1] neg_lo:[0,0,1] neg_hi:[0,0,1]
	v_pk_add_f32 v[26:27], v[166:167], v[26:27]
	v_mov_b32_e32 v175, v177
	v_mov_b32_e32 v182, v22
	v_mov_b32_e32 v183, v19
	v_pk_add_f32 v[26:27], v[174:175], v[26:27]
	v_mov_b32_e32 v19, v23
	v_pk_mul_f32 v[22:23], v[24:25], s[22:23] op_sel:[1,0] op_sel_hi:[0,0]
	v_pk_add_f32 v[18:19], v[18:19], v[26:27]
	v_pk_fma_f32 v[26:27], v[20:21], s[60:61], v[22:23] op_sel_hi:[1,0,1]
	v_pk_fma_f32 v[22:23], v[20:21], s[60:61], v[22:23] op_sel_hi:[1,0,1] neg_lo:[0,0,1] neg_hi:[0,0,1]
	v_pk_mul_f32 v[30:31], v[94:95], s[28:29] op_sel:[1,0] op_sel_hi:[0,0]
	v_mov_b32_e32 v28, v26
	v_mov_b32_e32 v29, v23
	v_pk_fma_f32 v[32:33], v[92:93], s[52:53], v[30:31] op_sel_hi:[1,0,1]
	v_pk_fma_f32 v[30:31], v[92:93], s[52:53], v[30:31] op_sel_hi:[1,0,1] neg_lo:[0,0,1] neg_hi:[0,0,1]
	v_pk_add_f32 v[28:29], v[16:17], v[28:29]
	v_mov_b32_e32 v34, v32
	v_mov_b32_e32 v35, v31
	v_pk_add_f32 v[28:29], v[34:35], v[28:29]
	v_pk_mul_f32 v[34:35], v[164:165], s[20:21] op_sel:[1,0] op_sel_hi:[0,0]
	v_pk_fma_f32 v[36:37], v[138:139], s[58:59], v[34:35] op_sel_hi:[1,0,1]
	v_pk_fma_f32 v[34:35], v[138:139], s[58:59], v[34:35] op_sel_hi:[1,0,1] neg_lo:[0,0,1] neg_hi:[0,0,1]
	v_mov_b32_e32 v40, v36
	v_mov_b32_e32 v41, v35
	v_pk_add_f32 v[28:29], v[40:41], v[28:29]
	v_pk_mul_f32 v[40:41], v[172:173], s[36:37] op_sel:[1,0] op_sel_hi:[0,0]
	v_pk_fma_f32 v[44:45], v[170:171], s[56:57], v[40:41] op_sel_hi:[1,0,1]
	v_pk_fma_f32 v[40:41], v[170:171], s[56:57], v[40:41] op_sel_hi:[1,0,1] neg_lo:[0,0,1] neg_hi:[0,0,1]
	v_mov_b32_e32 v23, v27
	v_mov_b32_e32 v48, v44
	;; [unrolled: 1-line block ×3, first 2 shown]
	v_pk_add_f32 v[22:23], v[16:17], v[22:23]
	v_mov_b32_e32 v31, v33
	v_pk_add_f32 v[28:29], v[48:49], v[28:29]
	v_pk_mul_f32 v[48:49], v[180:181], s[18:19] op_sel:[1,0] op_sel_hi:[0,0]
	v_pk_add_f32 v[22:23], v[30:31], v[22:23]
	v_mov_b32_e32 v35, v37
	v_pk_fma_f32 v[52:53], v[178:179], s[54:55], v[48:49] op_sel_hi:[1,0,1]
	v_pk_fma_f32 v[48:49], v[178:179], s[54:55], v[48:49] op_sel_hi:[1,0,1] neg_lo:[0,0,1] neg_hi:[0,0,1]
	v_pk_add_f32 v[22:23], v[34:35], v[22:23]
	v_mov_b32_e32 v41, v45
	v_mov_b32_e32 v68, v52
	;; [unrolled: 1-line block ×3, first 2 shown]
	v_pk_add_f32 v[22:23], v[40:41], v[22:23]
	v_mov_b32_e32 v49, v53
	v_pk_add_f32 v[28:29], v[68:69], v[28:29]
	v_pk_add_f32 v[22:23], v[48:49], v[22:23]
	ds_write2_b64 v71, v[22:23], v[28:29] offset0:48 offset1:99
	v_pk_mul_f32 v[22:23], v[24:25], s[20:21] op_sel:[1,0] op_sel_hi:[0,0]
	v_pk_fma_f32 v[26:27], v[20:21], s[58:59], v[22:23] op_sel_hi:[1,0,1]
	v_pk_fma_f32 v[22:23], v[20:21], s[58:59], v[22:23] op_sel_hi:[1,0,1] neg_lo:[0,0,1] neg_hi:[0,0,1]
	v_pk_mul_f32 v[30:31], v[94:95], s[26:27] op_sel:[1,0] op_sel_hi:[0,0]
	v_mov_b32_e32 v28, v26
	v_mov_b32_e32 v29, v23
	v_pk_fma_f32 v[32:33], v[92:93], s[54:55], v[30:31] op_sel_hi:[1,0,1]
	v_pk_fma_f32 v[30:31], v[92:93], s[54:55], v[30:31] op_sel_hi:[1,0,1] neg_lo:[0,0,1] neg_hi:[0,0,1]
	v_pk_add_f32 v[28:29], v[16:17], v[28:29]
	v_mov_b32_e32 v34, v32
	v_mov_b32_e32 v35, v31
	v_pk_add_f32 v[28:29], v[34:35], v[28:29]
	v_pk_mul_f32 v[34:35], v[164:165], s[14:15] op_sel:[1,0] op_sel_hi:[0,0]
	v_pk_fma_f32 v[36:37], v[138:139], s[52:53], v[34:35] op_sel_hi:[1,0,1]
	v_pk_fma_f32 v[34:35], v[138:139], s[52:53], v[34:35] op_sel_hi:[1,0,1] neg_lo:[0,0,1] neg_hi:[0,0,1]
	v_mov_b32_e32 v23, v27
	v_mov_b32_e32 v40, v36
	;; [unrolled: 1-line block ×3, first 2 shown]
	v_pk_add_f32 v[22:23], v[16:17], v[22:23]
	v_mov_b32_e32 v31, v33
	v_pk_add_f32 v[28:29], v[40:41], v[28:29]
	v_pk_mul_f32 v[40:41], v[172:173], s[22:23] op_sel:[1,0] op_sel_hi:[0,0]
	v_pk_add_f32 v[22:23], v[30:31], v[22:23]
	v_mov_b32_e32 v35, v37
	v_pk_mul_f32 v[26:27], v[24:25], s[18:19] op_sel:[1,0] op_sel_hi:[0,0]
	v_pk_fma_f32 v[44:45], v[170:171], s[60:61], v[40:41] op_sel_hi:[1,0,1]
	v_pk_fma_f32 v[40:41], v[170:171], s[60:61], v[40:41] op_sel_hi:[1,0,1] neg_lo:[0,0,1] neg_hi:[0,0,1]
	v_pk_add_f32 v[22:23], v[34:35], v[22:23]
	v_pk_fma_f32 v[30:31], v[20:21], s[54:55], v[26:27] op_sel_hi:[1,0,1]
	v_pk_fma_f32 v[26:27], v[20:21], s[54:55], v[26:27] op_sel_hi:[1,0,1] neg_lo:[0,0,1] neg_hi:[0,0,1]
	v_pk_mul_f32 v[34:35], v[94:95], s[24:25] op_sel:[1,0] op_sel_hi:[0,0]
	v_mov_b32_e32 v48, v44
	v_mov_b32_e32 v49, v41
	;; [unrolled: 1-line block ×5, first 2 shown]
	v_pk_fma_f32 v[36:37], v[92:93], s[60:61], v[34:35] op_sel_hi:[1,0,1]
	v_pk_fma_f32 v[34:35], v[92:93], s[60:61], v[34:35] op_sel_hi:[1,0,1] neg_lo:[0,0,1] neg_hi:[0,0,1]
	v_pk_add_f32 v[28:29], v[48:49], v[28:29]
	v_pk_mul_f32 v[48:49], v[180:181], s[36:37] op_sel:[1,0] op_sel_hi:[0,0]
	v_pk_add_f32 v[22:23], v[40:41], v[22:23]
	v_pk_add_f32 v[32:33], v[16:17], v[32:33]
	v_mov_b32_e32 v40, v36
	v_mov_b32_e32 v41, v35
	v_pk_fma_f32 v[52:53], v[178:179], s[56:57], v[48:49] op_sel_hi:[1,0,1]
	v_pk_fma_f32 v[48:49], v[178:179], s[56:57], v[48:49] op_sel_hi:[1,0,1] neg_lo:[0,0,1] neg_hi:[0,0,1]
	v_pk_add_f32 v[32:33], v[40:41], v[32:33]
	v_pk_mul_f32 v[40:41], v[164:165], s[36:37] op_sel:[1,0] op_sel_hi:[0,0]
	v_mov_b32_e32 v69, v49
	v_mov_b32_e32 v49, v53
	v_pk_fma_f32 v[44:45], v[138:139], s[56:57], v[40:41] op_sel_hi:[1,0,1]
	v_pk_fma_f32 v[40:41], v[138:139], s[56:57], v[40:41] op_sel_hi:[1,0,1] neg_lo:[0,0,1] neg_hi:[0,0,1]
	v_pk_add_f32 v[22:23], v[48:49], v[22:23]
	v_mov_b32_e32 v48, v44
	v_mov_b32_e32 v49, v41
	v_pk_add_f32 v[32:33], v[48:49], v[32:33]
	v_pk_mul_f32 v[48:49], v[172:173], s[14:15] op_sel:[1,0] op_sel_hi:[0,0]
	v_mov_b32_e32 v68, v52
	v_pk_fma_f32 v[52:53], v[170:171], s[52:53], v[48:49] op_sel_hi:[1,0,1]
	v_pk_fma_f32 v[48:49], v[170:171], s[52:53], v[48:49] op_sel_hi:[1,0,1] neg_lo:[0,0,1] neg_hi:[0,0,1]
	v_mov_b32_e32 v27, v31
	v_pk_add_f32 v[28:29], v[68:69], v[28:29]
	v_mov_b32_e32 v68, v52
	v_mov_b32_e32 v69, v49
	v_pk_add_f32 v[26:27], v[16:17], v[26:27]
	v_mov_b32_e32 v35, v37
	v_pk_add_f32 v[32:33], v[68:69], v[32:33]
	v_pk_mul_f32 v[68:69], v[180:181], s[20:21] op_sel:[1,0] op_sel_hi:[0,0]
	v_pk_add_f32 v[26:27], v[34:35], v[26:27]
	v_mov_b32_e32 v41, v45
	v_pk_fma_f32 v[78:79], v[178:179], s[58:59], v[68:69] op_sel_hi:[1,0,1]
	v_pk_fma_f32 v[68:69], v[178:179], s[58:59], v[68:69] op_sel_hi:[1,0,1] neg_lo:[0,0,1] neg_hi:[0,0,1]
	v_pk_add_f32 v[26:27], v[40:41], v[26:27]
	v_mov_b32_e32 v49, v53
	v_mov_b32_e32 v81, v69
	v_pk_add_f32 v[26:27], v[48:49], v[26:27]
	v_mov_b32_e32 v69, v79
	v_mov_b32_e32 v80, v78
	v_pk_add_f32 v[26:27], v[68:69], v[26:27]
	v_pk_add_f32 v[32:33], v[80:81], v[32:33]
	ds_write2_b64 v73, v[26:27], v[22:23] offset0:202 offset1:253
	ds_write2_b64 v71, v[28:29], v[32:33] offset0:150 offset1:201
	v_pk_mul_f32 v[22:23], v[24:25], s[16:17] op_sel:[1,0] op_sel_hi:[0,0]
	v_pk_fma_f32 v[24:25], v[20:21], s[56:57], v[22:23] op_sel_hi:[1,0,1]
	v_pk_fma_f32 v[20:21], v[20:21], s[56:57], v[22:23] op_sel_hi:[1,0,1] neg_lo:[0,0,1] neg_hi:[0,0,1]
	v_pk_mul_f32 v[26:27], v[94:95], s[20:21] op_sel:[1,0] op_sel_hi:[0,0]
	v_mov_b32_e32 v22, v24
	v_mov_b32_e32 v23, v21
	v_pk_fma_f32 v[28:29], v[92:93], s[58:59], v[26:27] op_sel_hi:[1,0,1]
	v_pk_fma_f32 v[26:27], v[92:93], s[58:59], v[26:27] op_sel_hi:[1,0,1] neg_lo:[0,0,1] neg_hi:[0,0,1]
	v_pk_add_f32 v[22:23], v[16:17], v[22:23]
	v_mov_b32_e32 v30, v28
	v_mov_b32_e32 v31, v27
	v_pk_add_f32 v[22:23], v[30:31], v[22:23]
	v_pk_mul_f32 v[30:31], v[164:165], s[24:25] op_sel:[1,0] op_sel_hi:[0,0]
	v_pk_fma_f32 v[32:33], v[138:139], s[60:61], v[30:31] op_sel_hi:[1,0,1]
	v_pk_fma_f32 v[30:31], v[138:139], s[60:61], v[30:31] op_sel_hi:[1,0,1] neg_lo:[0,0,1] neg_hi:[0,0,1]
	v_mov_b32_e32 v34, v32
	v_mov_b32_e32 v35, v31
	v_pk_add_f32 v[22:23], v[34:35], v[22:23]
	v_pk_mul_f32 v[34:35], v[172:173], s[26:27] op_sel:[1,0] op_sel_hi:[0,0]
	v_pk_fma_f32 v[36:37], v[170:171], s[54:55], v[34:35] op_sel_hi:[1,0,1]
	v_pk_fma_f32 v[34:35], v[170:171], s[54:55], v[34:35] op_sel_hi:[1,0,1] neg_lo:[0,0,1] neg_hi:[0,0,1]
	v_mov_b32_e32 v21, v25
	v_mov_b32_e32 v40, v36
	;; [unrolled: 1-line block ×3, first 2 shown]
	v_pk_add_f32 v[16:17], v[16:17], v[20:21]
	v_mov_b32_e32 v27, v29
	v_pk_add_f32 v[22:23], v[40:41], v[22:23]
	v_pk_mul_f32 v[40:41], v[180:181], s[28:29] op_sel:[1,0] op_sel_hi:[0,0]
	v_pk_add_f32 v[16:17], v[26:27], v[16:17]
	v_mov_b32_e32 v31, v33
	v_pk_fma_f32 v[44:45], v[178:179], s[52:53], v[40:41] op_sel_hi:[1,0,1]
	v_pk_fma_f32 v[40:41], v[178:179], s[52:53], v[40:41] op_sel_hi:[1,0,1] neg_lo:[0,0,1] neg_hi:[0,0,1]
	v_pk_add_f32 v[16:17], v[30:31], v[16:17]
	v_mov_b32_e32 v35, v37
	v_mov_b32_e32 v48, v44
	;; [unrolled: 1-line block ×3, first 2 shown]
	v_pk_add_f32 v[16:17], v[34:35], v[16:17]
	v_mov_b32_e32 v41, v45
	v_pk_add_f32 v[22:23], v[48:49], v[22:23]
	v_pk_add_f32 v[16:17], v[40:41], v[16:17]
	;; [unrolled: 1-line block ×3, first 2 shown]
	ds_write2_b64 v73, v[18:19], v[16:17] offset0:100 offset1:151
	ds_write2_b64 v55, v[22:23], v[90:91] offset0:124 offset1:175
	v_pk_mul_f32 v[16:17], v[152:153], s[34:35]
	v_mov_b32_e32 v23, v51
	v_mov_b32_e32 v51, v160
	v_pk_fma_f32 v[18:19], v[154:155], s[14:15], v[16:17] neg_lo:[1,0,0] neg_hi:[1,0,0]
	v_pk_fma_f32 v[20:21], v[14:15], s[14:15], v[16:17]
	v_mov_b32_e32 v22, v161
	v_pk_mul_f32 v[24:25], v[50:51], s[46:47]
	v_mov_b32_e32 v19, v21
	v_pk_fma_f32 v[26:27], v[22:23], s[16:17], v[24:25] neg_lo:[1,0,0] neg_hi:[1,0,0]
	v_pk_fma_f32 v[28:29], v[22:23], s[16:17], v[24:25]
	v_pk_add_f32 v[18:19], v[12:13], v[18:19]
	v_mov_b32_e32 v27, v29
	v_pk_add_f32 v[18:19], v[26:27], v[18:19]
	v_mov_b32_e32 v27, v47
	v_mov_b32_e32 v47, v158
	;; [unrolled: 1-line block ×3, first 2 shown]
	v_pk_mul_f32 v[30:31], v[46:47], s[30:31]
	v_pk_mul_f32 v[68:69], v[50:51], s[38:39]
	v_pk_fma_f32 v[32:33], v[26:27], s[18:19], v[30:31] neg_lo:[1,0,0] neg_hi:[1,0,0]
	v_pk_fma_f32 v[34:35], v[26:27], s[18:19], v[30:31]
	v_pk_fma_f32 v[78:79], v[22:23], s[20:21], v[68:69] neg_lo:[1,0,0] neg_hi:[1,0,0]
	v_mov_b32_e32 v33, v35
	v_pk_add_f32 v[18:19], v[32:33], v[18:19]
	v_mov_b32_e32 v33, v43
	v_mov_b32_e32 v43, v66
	;; [unrolled: 1-line block ×3, first 2 shown]
	v_pk_mul_f32 v[36:37], v[42:43], s[38:39]
	v_pk_fma_f32 v[80:81], v[22:23], s[20:21], v[68:69]
	v_pk_fma_f32 v[40:41], v[32:33], s[20:21], v[36:37] neg_lo:[1,0,0] neg_hi:[1,0,0]
	v_pk_fma_f32 v[44:45], v[32:33], s[20:21], v[36:37]
	v_mov_b32_e32 v79, v81
	v_mov_b32_e32 v41, v45
	v_pk_add_f32 v[18:19], v[40:41], v[18:19]
	v_mov_b32_e32 v41, v39
	v_mov_b32_e32 v39, v64
	;; [unrolled: 1-line block ×3, first 2 shown]
	v_pk_mul_f32 v[48:49], v[38:39], s[40:41]
	v_pk_mul_f32 v[98:99], v[50:51], s[50:51]
	v_pk_fma_f32 v[52:53], v[40:41], s[22:23], v[48:49] neg_lo:[1,0,0] neg_hi:[1,0,0]
	v_pk_fma_f32 v[64:65], v[40:41], s[22:23], v[48:49]
	v_pk_fma_f32 v[120:121], v[22:23], s[24:25], v[98:99] neg_lo:[1,0,0] neg_hi:[1,0,0]
	v_mov_b32_e32 v53, v65
	v_pk_add_f32 v[18:19], v[52:53], v[18:19]
	ds_write2_b64 v0, v[156:157], v[18:19] offset0:98 offset1:149
	v_pk_mul_f32 v[18:19], v[152:153], s[46:47]
	v_pk_fma_f32 v[122:123], v[22:23], s[24:25], v[98:99]
	v_pk_fma_f32 v[52:53], v[154:155], s[16:17], v[18:19] neg_lo:[1,0,0] neg_hi:[1,0,0]
	v_pk_fma_f32 v[66:67], v[14:15], s[16:17], v[18:19]
	v_mov_b32_e32 v121, v123
	v_mov_b32_e32 v53, v67
	v_pk_add_f32 v[52:53], v[12:13], v[52:53]
	v_pk_mul_f32 v[160:161], v[50:51], s[48:49]
	v_pk_add_f32 v[52:53], v[78:79], v[52:53]
	v_pk_mul_f32 v[78:79], v[46:47], s[50:51]
	v_pk_fma_f32 v[162:163], v[22:23], s[26:27], v[160:161] neg_lo:[1,0,0] neg_hi:[1,0,0]
	v_pk_fma_f32 v[82:83], v[26:27], s[24:25], v[78:79] neg_lo:[1,0,0] neg_hi:[1,0,0]
	v_pk_fma_f32 v[84:85], v[26:27], s[24:25], v[78:79]
	v_pk_fma_f32 v[164:165], v[22:23], s[26:27], v[160:161]
	v_mov_b32_e32 v83, v85
	v_pk_add_f32 v[52:53], v[82:83], v[52:53]
	v_pk_mul_f32 v[82:83], v[42:43], s[48:49]
	v_mov_b32_e32 v163, v165
	v_pk_fma_f32 v[86:87], v[32:33], s[26:27], v[82:83] neg_lo:[1,0,0] neg_hi:[1,0,0]
	v_pk_fma_f32 v[88:89], v[32:33], s[26:27], v[82:83]
	v_pk_mul_f32 v[50:51], v[50:51], s[42:43]
	v_mov_b32_e32 v87, v89
	v_pk_add_f32 v[52:53], v[86:87], v[52:53]
	v_pk_mul_f32 v[86:87], v[38:39], s[42:43]
	v_pk_fma_f32 v[178:179], v[22:23], s[28:29], v[50:51] neg_lo:[1,0,0] neg_hi:[1,0,0]
	v_pk_fma_f32 v[90:91], v[40:41], s[28:29], v[86:87] neg_lo:[1,0,0] neg_hi:[1,0,0]
	v_pk_fma_f32 v[92:93], v[40:41], s[28:29], v[86:87]
	v_pk_fma_f32 v[180:181], v[22:23], s[28:29], v[50:51]
	v_mov_b32_e32 v91, v93
	v_pk_add_f32 v[52:53], v[90:91], v[52:53]
	v_pk_mul_f32 v[90:91], v[152:153], s[30:31]
	v_mov_b32_e32 v179, v181
	v_pk_fma_f32 v[94:95], v[154:155], s[18:19], v[90:91] neg_lo:[1,0,0] neg_hi:[1,0,0]
	v_pk_fma_f32 v[96:97], v[14:15], s[18:19], v[90:91]
	v_pk_fma_f32 v[50:51], v[22:23], s[28:29], v[50:51] neg_lo:[0,0,1] neg_hi:[0,0,1]
	v_mov_b32_e32 v95, v97
	v_pk_add_f32 v[94:95], v[12:13], v[94:95]
	v_mov_b32_e32 v181, v51
	v_pk_add_f32 v[94:95], v[120:121], v[94:95]
	v_pk_mul_f32 v[120:121], v[46:47], s[44:45]
	v_pk_fma_f32 v[18:19], v[14:15], s[16:17], v[18:19] neg_lo:[0,0,1] neg_hi:[0,0,1]
	v_pk_fma_f32 v[138:139], v[26:27], s[36:37], v[120:121] neg_lo:[1,0,0] neg_hi:[1,0,0]
	v_pk_fma_f32 v[146:147], v[26:27], s[36:37], v[120:121]
	v_mov_b32_e32 v67, v19
	v_mov_b32_e32 v139, v147
	v_pk_add_f32 v[94:95], v[138:139], v[94:95]
	v_pk_mul_f32 v[138:139], v[42:43], s[34:35]
	v_pk_add_f32 v[18:19], v[12:13], v[66:67]
	v_pk_fma_f32 v[148:149], v[32:33], s[14:15], v[138:139] neg_lo:[1,0,0] neg_hi:[1,0,0]
	v_pk_fma_f32 v[150:151], v[32:33], s[14:15], v[138:139]
	scratch_store_dword off, v1, off        ; 4-byte Folded Spill
	v_mov_b32_e32 v149, v151
	v_pk_add_f32 v[94:95], v[148:149], v[94:95]
	v_pk_mul_f32 v[148:149], v[38:39], s[38:39]
	v_accvgpr_write_b32 a153, v117
	v_pk_fma_f32 v[156:157], v[40:41], s[20:21], v[148:149] neg_lo:[1,0,0] neg_hi:[1,0,0]
	v_pk_fma_f32 v[158:159], v[40:41], s[20:21], v[148:149]
	v_accvgpr_write_b32 a152, v116
	v_mov_b32_e32 v157, v159
	v_pk_add_f32 v[94:95], v[156:157], v[94:95]
	ds_write2_b64 v0, v[52:53], v[94:95] offset0:200 offset1:251
	v_pk_mul_f32 v[52:53], v[152:153], s[38:39]
	v_pk_mul_f32 v[152:153], v[152:153], s[40:41]
	v_pk_fma_f32 v[94:95], v[154:155], s[20:21], v[52:53] neg_lo:[1,0,0] neg_hi:[1,0,0]
	v_pk_fma_f32 v[156:157], v[14:15], s[20:21], v[52:53]
	v_pk_fma_f32 v[154:155], v[154:155], s[22:23], v[152:153] neg_lo:[1,0,0] neg_hi:[1,0,0]
	v_mov_b32_e32 v95, v157
	v_pk_add_f32 v[94:95], v[12:13], v[94:95]
	v_add_u32_e32 v0, 0x2800, v1
	v_pk_add_f32 v[94:95], v[162:163], v[94:95]
	v_pk_mul_f32 v[162:163], v[46:47], s[34:35]
	v_pk_mul_f32 v[46:47], v[46:47], s[38:39]
	v_pk_fma_f32 v[166:167], v[26:27], s[14:15], v[162:163] neg_lo:[1,0,0] neg_hi:[1,0,0]
	v_pk_fma_f32 v[168:169], v[26:27], s[14:15], v[162:163]
	v_pk_fma_f32 v[182:183], v[26:27], s[20:21], v[46:47]
	v_mov_b32_e32 v167, v169
	v_pk_add_f32 v[94:95], v[166:167], v[94:95]
	v_pk_mul_f32 v[166:167], v[42:43], s[40:41]
	v_pk_mul_f32 v[42:43], v[42:43], s[44:45]
	v_pk_fma_f32 v[170:171], v[32:33], s[22:23], v[166:167] neg_lo:[1,0,0] neg_hi:[1,0,0]
	v_pk_fma_f32 v[172:173], v[32:33], s[22:23], v[166:167]
	v_pk_fma_f32 v[184:185], v[32:33], s[36:37], v[42:43]
	v_mov_b32_e32 v171, v173
	;; [unrolled: 7-line block ×3, first 2 shown]
	v_pk_add_f32 v[94:95], v[174:175], v[94:95]
	v_pk_fma_f32 v[174:175], v[14:15], s[22:23], v[152:153]
	v_accvgpr_write_b32 a151, v115
	v_mov_b32_e32 v155, v175
	v_pk_add_f32 v[154:155], v[12:13], v[154:155]
	v_accvgpr_write_b32 a150, v114
	v_pk_add_f32 v[154:155], v[178:179], v[154:155]
	v_pk_fma_f32 v[178:179], v[26:27], s[20:21], v[46:47] neg_lo:[1,0,0] neg_hi:[1,0,0]
	v_pk_fma_f32 v[46:47], v[26:27], s[20:21], v[46:47] neg_lo:[0,0,1] neg_hi:[0,0,1]
	v_mov_b32_e32 v179, v183
	v_pk_add_f32 v[154:155], v[178:179], v[154:155]
	v_pk_fma_f32 v[178:179], v[32:33], s[36:37], v[42:43] neg_lo:[1,0,0] neg_hi:[1,0,0]
	v_mov_b32_e32 v183, v47
	v_mov_b32_e32 v179, v185
	v_pk_add_f32 v[154:155], v[178:179], v[154:155]
	v_pk_fma_f32 v[178:179], v[40:41], s[18:19], v[38:39] neg_lo:[1,0,0] neg_hi:[1,0,0]
	v_pk_fma_f32 v[42:43], v[32:33], s[36:37], v[42:43] neg_lo:[0,0,1] neg_hi:[0,0,1]
	v_mov_b32_e32 v179, v187
	v_pk_add_f32 v[154:155], v[178:179], v[154:155]
	ds_write2_b64 v0, v[94:95], v[154:155] offset0:46 offset1:97
	v_pk_fma_f32 v[94:95], v[14:15], s[22:23], v[152:153] neg_lo:[0,0,1] neg_hi:[0,0,1]
	v_mov_b32_e32 v185, v43
	v_mov_b32_e32 v175, v95
	v_pk_add_f32 v[94:95], v[12:13], v[174:175]
	v_pk_fma_f32 v[38:39], v[40:41], s[18:19], v[38:39] neg_lo:[0,0,1] neg_hi:[0,0,1]
	v_pk_add_f32 v[50:51], v[180:181], v[94:95]
	v_mov_b32_e32 v187, v39
	v_pk_add_f32 v[46:47], v[182:183], v[50:51]
	v_accvgpr_write_b32 a174, v198
	v_pk_add_f32 v[42:43], v[184:185], v[46:47]
	v_pk_fma_f32 v[46:47], v[22:23], s[26:27], v[160:161] neg_lo:[0,0,1] neg_hi:[0,0,1]
	v_pk_add_f32 v[38:39], v[186:187], v[42:43]
	v_pk_fma_f32 v[42:43], v[14:15], s[20:21], v[52:53] neg_lo:[0,0,1] neg_hi:[0,0,1]
	v_mov_b32_e32 v165, v47
	v_mov_b32_e32 v157, v43
	v_pk_add_f32 v[42:43], v[12:13], v[156:157]
	v_pk_fma_f32 v[46:47], v[26:27], s[14:15], v[162:163] neg_lo:[0,0,1] neg_hi:[0,0,1]
	v_pk_add_f32 v[42:43], v[164:165], v[42:43]
	v_mov_b32_e32 v169, v47
	v_pk_fma_f32 v[46:47], v[32:33], s[22:23], v[166:167] neg_lo:[0,0,1] neg_hi:[0,0,1]
	v_pk_add_f32 v[42:43], v[168:169], v[42:43]
	v_mov_b32_e32 v173, v47
	;; [unrolled: 3-line block ×3, first 2 shown]
	v_pk_add_f32 v[42:43], v[176:177], v[42:43]
	ds_write2_b64 v0, v[38:39], v[42:43] offset0:148 offset1:199
	v_pk_fma_f32 v[38:39], v[14:15], s[18:19], v[90:91] neg_lo:[0,0,1] neg_hi:[0,0,1]
	v_pk_fma_f32 v[14:15], v[14:15], s[14:15], v[16:17] neg_lo:[0,0,1] neg_hi:[0,0,1]
	v_mov_b32_e32 v97, v39
	v_mov_b32_e32 v21, v15
	v_pk_fma_f32 v[14:15], v[22:23], s[16:17], v[24:25] neg_lo:[0,0,1] neg_hi:[0,0,1]
	v_pk_add_f32 v[38:39], v[12:13], v[96:97]
	v_pk_add_f32 v[12:13], v[12:13], v[20:21]
	v_mov_b32_e32 v29, v15
	v_pk_fma_f32 v[14:15], v[26:27], s[18:19], v[30:31] neg_lo:[0,0,1] neg_hi:[0,0,1]
	v_pk_add_f32 v[12:13], v[28:29], v[12:13]
	v_mov_b32_e32 v35, v15
	v_pk_fma_f32 v[14:15], v[32:33], s[20:21], v[36:37] neg_lo:[0,0,1] neg_hi:[0,0,1]
	;; [unrolled: 3-line block ×3, first 2 shown]
	v_pk_fma_f32 v[42:43], v[22:23], s[24:25], v[98:99] neg_lo:[0,0,1] neg_hi:[0,0,1]
	v_pk_add_f32 v[12:13], v[44:45], v[12:13]
	v_mov_b32_e32 v65, v15
	v_mov_b32_e32 v123, v43
	v_pk_fma_f32 v[42:43], v[26:27], s[36:37], v[120:121] neg_lo:[0,0,1] neg_hi:[0,0,1]
	v_pk_add_f32 v[12:13], v[64:65], v[12:13]
	v_mov_b32_e32 v147, v43
	v_pk_fma_f32 v[42:43], v[32:33], s[14:15], v[138:139] neg_lo:[0,0,1] neg_hi:[0,0,1]
	ds_write_b64 v1, v[12:13] offset:13056
	v_lshlrev_b32_e32 v12, 4, v102
	v_mov_b32_e32 v13, 0
	v_mov_b32_e32 v151, v43
	v_pk_fma_f32 v[42:43], v[40:41], s[20:21], v[148:149] neg_lo:[0,0,1] neg_hi:[0,0,1]
	v_lshl_add_u64 v[14:15], s[0:1], 0, v[12:13]
	v_lshlrev_b32_e32 v12, 4, v54
	v_mov_b32_e32 v159, v43
	v_pk_fma_f32 v[42:43], v[22:23], s[20:21], v[68:69] neg_lo:[0,0,1] neg_hi:[0,0,1]
	v_lshl_add_u64 v[24:25], s[0:1], 0, v[12:13]
	v_lshlrev_b32_e32 v12, 4, v144
	;; [unrolled: 4-line block ×3, first 2 shown]
	v_pk_add_f32 v[38:39], v[122:123], v[38:39]
	v_pk_add_f32 v[18:19], v[80:81], v[18:19]
	v_mov_b32_e32 v85, v43
	v_pk_fma_f32 v[42:43], v[32:33], s[26:27], v[82:83] neg_lo:[0,0,1] neg_hi:[0,0,1]
	v_lshl_add_u64 v[28:29], s[0:1], 0, v[12:13]
	v_lshlrev_b32_e32 v12, 4, v140
	v_pk_add_f32 v[38:39], v[146:147], v[38:39]
	v_pk_add_f32 v[18:19], v[84:85], v[18:19]
	v_mov_b32_e32 v89, v43
	v_pk_fma_f32 v[42:43], v[40:41], s[28:29], v[86:87] neg_lo:[0,0,1] neg_hi:[0,0,1]
	v_lshl_add_u64 v[30:31], s[0:1], 0, v[12:13]
	v_lshlrev_b32_e32 v12, 4, v192
	v_pk_add_f32 v[38:39], v[150:151], v[38:39]
	v_pk_add_f32 v[18:19], v[88:89], v[18:19]
	v_mov_b32_e32 v93, v43
	v_lshl_add_u64 v[32:33], s[0:1], 0, v[12:13]
	v_lshlrev_b32_e32 v12, 4, v136
	v_pk_add_f32 v[38:39], v[158:159], v[38:39]
	v_pk_add_f32 v[18:19], v[92:93], v[18:19]
	v_add_u32_e32 v0, 0x2c00, v1
	v_lshl_add_u64 v[16:17], s[0:1], 0, v[12:13]
	v_lshlrev_b32_e32 v12, 4, v134
	ds_write2_b64 v0, v[38:39], v[18:19] offset0:122 offset1:173
	v_lshl_add_u64 v[18:19], s[0:1], 0, v[12:13]
	v_add_co_u32_e32 v18, vcc, s9, v18
	s_waitcnt lgkmcnt(0)
	s_nop 0
	v_addc_co_u32_e32 v19, vcc, 0, v19, vcc
	; wave barrier
	global_load_dwordx4 v[0:3], v[18:19], off offset:256
	v_add_co_u32_e32 v16, vcc, s9, v16
	v_lshlrev_b32_e32 v12, 4, v132
	s_nop 0
	v_addc_co_u32_e32 v17, vcc, 0, v17, vcc
	global_load_dwordx4 v[8:11], v[16:17], off offset:256
	v_add_co_u32_e32 v14, vcc, s9, v14
	ds_read2_b64 v[16:19], v55 offset0:124 offset1:175
	ds_read2_b64 v[20:23], v74 offset0:122 offset1:173
	v_addc_co_u32_e32 v15, vcc, 0, v15, vcc
	v_add_co_u32_e32 v24, vcc, s9, v24
	s_add_u32 s14, s12, 0x3498
	s_nop 0
	v_addc_co_u32_e32 v25, vcc, 0, v25, vcc
	global_load_dwordx4 v[44:47], v[14:15], off offset:256
	global_load_dwordx4 v[82:85], v[24:25], off offset:256
	v_add_co_u32_e32 v14, vcc, s9, v26
	v_lshl_add_u64 v[24:25], s[0:1], 0, v[12:13]
	s_nop 0
	v_addc_co_u32_e32 v15, vcc, 0, v27, vcc
	v_add_co_u32_e32 v24, vcc, s9, v24
	v_lshlrev_b32_e32 v12, 4, v130
	s_nop 0
	v_addc_co_u32_e32 v25, vcc, 0, v25, vcc
	global_load_dwordx4 v[60:63], v[24:25], off offset:256
	v_add_co_u32_e32 v24, vcc, s9, v28
	s_addc_u32 s15, s13, 0
	s_nop 0
	v_addc_co_u32_e32 v25, vcc, 0, v29, vcc
	global_load_dwordx4 v[48:51], v[14:15], off offset:256
	global_load_dwordx4 v[86:89], v[24:25], off offset:256
	v_lshl_add_u64 v[14:15], s[0:1], 0, v[12:13]
	v_add_co_u32_e32 v14, vcc, s9, v14
	v_lshlrev_b32_e32 v12, 4, v128
	s_nop 0
	v_addc_co_u32_e32 v15, vcc, 0, v15, vcc
	global_load_dwordx4 v[56:59], v[14:15], off offset:256
	v_add_co_u32_e32 v14, vcc, s9, v30
	v_lshl_add_u64 v[24:25], s[0:1], 0, v[12:13]
	s_nop 0
	v_addc_co_u32_e32 v15, vcc, 0, v31, vcc
	v_add_co_u32_e32 v24, vcc, s9, v24
	s_movk_i32 s0, 0x2000
	s_nop 0
	v_addc_co_u32_e32 v25, vcc, 0, v25, vcc
	global_load_dwordx4 v[78:81], v[24:25], off offset:256
	ds_read2_b64 v[24:27], v71 offset0:150 offset1:201
	v_add_co_u32_e32 v28, vcc, s9, v32
	v_accvgpr_write_b32 a181, v127
	s_nop 0
	v_addc_co_u32_e32 v29, vcc, 0, v33, vcc
	global_load_dwordx4 v[90:93], v[14:15], off offset:256
	global_load_dwordx4 v[64:67], v[28:29], off offset:256
	ds_read2_b64 v[28:31], v72 offset0:148 offset1:199
	ds_read2_b64 v[128:131], v71 offset0:48 offset1:99
	v_accvgpr_write_b32 a175, v199
	v_accvgpr_write_b32 a176, v200
	;; [unrolled: 1-line block ×6, first 2 shown]
	s_waitcnt vmcnt(10)
	v_mov_b32_e32 v12, v1
	s_waitcnt lgkmcnt(2)
	v_pk_mul_f32 v[14:15], v[24:25], v[12:13] op_sel:[1,0] op_sel_hi:[0,1]
	v_pk_fma_f32 v[34:35], v[24:25], v[0:1], v[14:15] neg_lo:[0,0,1] neg_hi:[0,0,1]
	v_pk_mul_f32 v[14:15], v[24:25], v[0:1] op_sel:[1,0] op_sel_hi:[0,1]
	v_mov_b32_e32 v15, v14
	v_mov_b32_e32 v12, v3
	v_pk_fma_f32 v[24:25], v[24:25], v[0:1], v[14:15] op_sel:[1,0,0] op_sel_hi:[0,1,1]
	s_waitcnt lgkmcnt(1)
	v_pk_mul_f32 v[14:15], v[30:31], v[12:13] op_sel:[1,0] op_sel_hi:[0,1]
	v_pk_fma_f32 v[36:37], v[30:31], v[2:3], v[14:15] neg_lo:[0,0,1] neg_hi:[0,0,1]
	v_pk_mul_f32 v[14:15], v[30:31], v[2:3] op_sel:[1,0] op_sel_hi:[0,1]
	v_mov_b32_e32 v15, v14
	v_pk_fma_f32 v[38:39], v[30:31], v[2:3], v[14:15] op_sel:[1,0,0] op_sel_hi:[0,1,1]
	ds_read2_b64 v[30:33], v70 offset0:50 offset1:101
	s_waitcnt vmcnt(9) lgkmcnt(1)
	v_pk_mul_f32 v[14:15], v[130:131], v[8:9] op_sel:[0,1]
	v_mov_b32_e32 v12, v11
	v_pk_fma_f32 v[40:41], v[130:131], v[8:9], v[14:15] op_sel:[0,0,1] op_sel_hi:[1,1,0] neg_lo:[0,0,1] neg_hi:[0,0,1]
	v_pk_fma_f32 v[14:15], v[130:131], v[8:9], v[14:15] op_sel:[0,0,1] op_sel_hi:[1,0,0]
	v_mov_b32_e32 v35, v25
	v_mov_b32_e32 v41, v15
	v_pk_mul_f32 v[14:15], v[28:29], v[12:13] op_sel_hi:[1,0]
	v_accvgpr_write_b32 a57, v3
	v_pk_fma_f32 v[42:43], v[28:29], v[10:11], v[14:15] op_sel:[0,0,1] op_sel_hi:[1,1,0] neg_lo:[0,0,1] neg_hi:[0,0,1]
	v_pk_fma_f32 v[14:15], v[28:29], v[10:11], v[14:15] op_sel:[0,0,1] op_sel_hi:[1,0,0]
	s_waitcnt lgkmcnt(0)
	v_pk_add_f32 v[24:25], v[32:33], v[34:35]
	v_mov_b32_e32 v43, v15
	v_pk_add_f32 v[14:15], v[30:31], v[40:41]
	v_mov_b32_e32 v37, v39
	v_pk_add_f32 v[130:131], v[14:15], v[42:43]
	v_pk_add_f32 v[14:15], v[40:41], v[42:43]
	v_accvgpr_write_b32 a56, v2
	v_pk_fma_f32 v[28:29], v[14:15], 0.5, v[30:31] op_sel_hi:[1,0,1] neg_lo:[1,0,0] neg_hi:[1,0,0]
	v_pk_add_f32 v[14:15], v[40:41], v[42:43] neg_lo:[0,1] neg_hi:[0,1]
	v_accvgpr_write_b32 a55, v1
	v_pk_mul_f32 v[30:31], v[14:15], s[8:9] op_sel_hi:[1,0]
	v_accvgpr_write_b32 a54, v0
	v_pk_add_f32 v[14:15], v[28:29], v[30:31] op_sel:[0,1] op_sel_hi:[1,0]
	v_pk_add_f32 v[134:135], v[28:29], v[30:31] op_sel:[0,1] op_sel_hi:[1,0] neg_lo:[0,1] neg_hi:[0,1]
	v_pk_add_f32 v[0:1], v[24:25], v[36:37]
	v_pk_add_f32 v[24:25], v[34:35], v[36:37]
	v_pk_add_f32 v[28:29], v[34:35], v[36:37] neg_lo:[0,1] neg_hi:[0,1]
	v_pk_fma_f32 v[24:25], v[24:25], 0.5, v[32:33] op_sel_hi:[1,0,1] neg_lo:[1,0,0] neg_hi:[1,0,0]
	v_pk_mul_f32 v[28:29], v[28:29], s[8:9] op_sel_hi:[1,0]
	s_waitcnt vmcnt(6)
	v_mov_b32_e32 v12, v63
	v_pk_add_f32 v[30:31], v[24:25], v[28:29] op_sel:[0,1] op_sel_hi:[1,0]
	v_pk_add_f32 v[94:95], v[24:25], v[28:29] op_sel:[0,1] op_sel_hi:[1,0] neg_lo:[0,1] neg_hi:[0,1]
	v_mov_b32_e32 v2, v30
	v_mov_b32_e32 v3, v95
	;; [unrolled: 1-line block ×3, first 2 shown]
	ds_read2_b64 v[28:31], v70 offset0:152 offset1:203
	v_pk_mul_f32 v[24:25], v[26:27], v[60:61] op_sel:[0,1]
	s_waitcnt vmcnt(3)
	v_pk_mul_f32 v[36:37], v[16:17], v[56:57] op_sel:[0,1]
	v_pk_fma_f32 v[32:33], v[26:27], v[60:61], v[24:25] op_sel:[0,0,1] op_sel_hi:[1,1,0] neg_lo:[0,0,1] neg_hi:[0,0,1]
	v_pk_fma_f32 v[24:25], v[26:27], v[60:61], v[24:25] op_sel:[0,0,1] op_sel_hi:[1,0,0]
	v_pk_fma_f32 v[38:39], v[16:17], v[56:57], v[36:37] op_sel:[1,0,0] op_sel_hi:[0,1,1]
	v_mov_b32_e32 v33, v25
	v_pk_mul_f32 v[24:25], v[20:21], v[12:13] op_sel_hi:[1,0]
	v_mov_b32_e32 v12, v59
	v_pk_fma_f32 v[26:27], v[20:21], v[62:63], v[24:25] op_sel:[0,0,1] op_sel_hi:[1,1,0] neg_lo:[0,0,1] neg_hi:[0,0,1]
	v_pk_fma_f32 v[20:21], v[20:21], v[62:63], v[24:25] op_sel:[0,0,1] op_sel_hi:[1,0,0]
	v_pk_fma_f32 v[16:17], v[16:17], v[56:57], v[36:37] op_sel:[1,0,0] op_sel_hi:[0,0,1] neg_lo:[0,0,1] neg_hi:[0,0,1]
	v_mov_b32_e32 v27, v21
	s_waitcnt lgkmcnt(0)
	v_pk_add_f32 v[20:21], v[28:29], v[32:33]
	v_pk_mul_f32 v[36:37], v[22:23], v[12:13] op_sel_hi:[1,0]
	v_pk_add_f32 v[96:97], v[20:21], v[26:27]
	v_pk_add_f32 v[20:21], v[32:33], v[26:27]
	v_pk_add_f32 v[32:33], v[32:33], v[26:27] neg_lo:[0,1] neg_hi:[0,1]
	ds_read2_b64 v[24:27], v75 offset0:126 offset1:177
	ds_read_b64 v[34:35], v100 offset:13056
	v_pk_fma_f32 v[40:41], v[22:23], v[58:59], v[36:37] op_sel:[1,0,0] op_sel_hi:[0,1,1]
	v_pk_fma_f32 v[22:23], v[22:23], v[58:59], v[36:37] op_sel:[1,0,0] op_sel_hi:[0,0,1] neg_lo:[0,0,1] neg_hi:[0,0,1]
	s_waitcnt vmcnt(2)
	v_pk_mul_f32 v[36:37], v[18:19], v[78:79] op_sel:[0,1]
	v_mov_b32_e32 v12, v81
	v_pk_fma_f32 v[42:43], v[18:19], v[78:79], v[36:37] op_sel:[0,0,1] op_sel_hi:[1,1,0] neg_lo:[0,0,1] neg_hi:[0,0,1]
	v_pk_fma_f32 v[18:19], v[18:19], v[78:79], v[36:37] op_sel:[0,0,1] op_sel_hi:[1,0,0]
	v_mov_b32_e32 v39, v17
	v_mov_b32_e32 v43, v19
	s_waitcnt lgkmcnt(0)
	v_pk_mul_f32 v[18:19], v[34:35], v[12:13] op_sel_hi:[1,0]
	v_mov_b32_e32 v16, v17
	v_pk_fma_f32 v[36:37], v[34:35], v[80:81], v[18:19] op_sel:[0,0,1] op_sel_hi:[1,1,0] neg_lo:[0,0,1] neg_hi:[0,0,1]
	v_pk_fma_f32 v[18:19], v[34:35], v[80:81], v[18:19] op_sel:[0,0,1] op_sel_hi:[1,0,0]
	v_mov_b32_e32 v17, v38
	v_mov_b32_e32 v37, v19
	v_pk_fma_f32 v[18:19], v[20:21], 0.5, v[28:29] op_sel_hi:[1,0,1] neg_lo:[1,0,0] neg_hi:[1,0,0]
	v_pk_mul_f32 v[20:21], v[32:33], s[8:9] op_sel_hi:[1,0]
	v_mov_b32_e32 v41, v23
	v_pk_add_f32 v[32:33], v[18:19], v[20:21] op_sel:[0,1] op_sel_hi:[1,0] neg_lo:[0,1] neg_hi:[0,1]
	v_pk_add_f32 v[104:105], v[18:19], v[20:21] op_sel:[0,1] op_sel_hi:[1,0]
	v_mov_b32_e32 v20, v23
	v_mov_b32_e32 v21, v40
	v_pk_add_f32 v[18:19], v[30:31], v[16:17]
	v_pk_add_f32 v[16:17], v[16:17], v[20:21]
	;; [unrolled: 1-line block ×3, first 2 shown]
	v_pk_fma_f32 v[16:17], v[16:17], 0.5, v[30:31] op_sel_hi:[1,0,1] neg_lo:[1,0,0] neg_hi:[1,0,0]
	v_pk_add_f32 v[18:19], v[38:39], v[40:41] neg_lo:[0,1] neg_hi:[0,1]
	v_mov_b32_e32 v12, v47
	v_pk_fma_f32 v[20:21], v[18:19], s[8:9], v[16:17] op_sel_hi:[1,0,1]
	v_pk_fma_f32 v[114:115], v[18:19], s[8:9], v[16:17] op_sel_hi:[1,0,1] neg_lo:[1,0,0] neg_hi:[1,0,0]
	v_pk_add_f32 v[16:17], v[24:25], v[42:43]
	v_pk_add_f32 v[18:19], v[42:43], v[36:37] neg_lo:[0,1] neg_hi:[0,1]
	v_pk_add_f32 v[116:117], v[16:17], v[36:37]
	v_pk_add_f32 v[16:17], v[42:43], v[36:37]
	v_pk_mul_f32 v[18:19], v[18:19], s[8:9] op_sel_hi:[1,0]
	v_pk_fma_f32 v[16:17], v[16:17], 0.5, v[24:25] op_sel_hi:[1,0,1] neg_lo:[1,0,0] neg_hi:[1,0,0]
	v_mov_b32_e32 v110, v20
	v_mov_b32_e32 v111, v115
	;; [unrolled: 1-line block ×3, first 2 shown]
	v_pk_add_f32 v[20:21], v[16:17], v[18:19] op_sel:[0,1] op_sel_hi:[1,0]
	v_pk_add_f32 v[158:159], v[16:17], v[18:19] op_sel:[0,1] op_sel_hi:[1,0] neg_lo:[0,1] neg_hi:[0,1]
	v_mov_b32_e32 v156, v20
	v_mov_b32_e32 v157, v159
	;; [unrolled: 1-line block ×3, first 2 shown]
	ds_read2_b64 v[16:19], v100 offset1:51
	ds_read2_b64 v[20:23], v76 offset0:98 offset1:149
	v_pk_mul_f32 v[24:25], v[26:27], v[44:45] op_sel:[0,1]
	v_accvgpr_write_b32 a89, v47
	v_pk_fma_f32 v[30:31], v[26:27], v[44:45], v[24:25] op_sel:[0,0,1] op_sel_hi:[1,1,0] neg_lo:[0,0,1] neg_hi:[0,0,1]
	v_pk_fma_f32 v[24:25], v[26:27], v[44:45], v[24:25] op_sel:[0,0,1] op_sel_hi:[1,0,0]
	v_accvgpr_write_b32 a88, v46
	v_mov_b32_e32 v31, v25
	s_waitcnt lgkmcnt(0)
	v_pk_mul_f32 v[24:25], v[20:21], v[12:13] op_sel_hi:[1,0]
	v_mov_b32_e32 v12, v85
	v_pk_fma_f32 v[34:35], v[20:21], v[46:47], v[24:25] op_sel:[0,0,1] op_sel_hi:[1,1,0] neg_lo:[0,0,1] neg_hi:[0,0,1]
	v_pk_fma_f32 v[20:21], v[20:21], v[46:47], v[24:25] op_sel:[0,0,1] op_sel_hi:[1,0,0]
	v_accvgpr_write_b32 a87, v45
	v_mov_b32_e32 v35, v21
	v_pk_add_f32 v[24:25], v[30:31], v[34:35] neg_lo:[0,1] neg_hi:[0,1]
	v_pk_add_f32 v[20:21], v[30:31], v[34:35]
	v_pk_mul_f32 v[28:29], v[24:25], s[8:9] op_sel_hi:[1,0]
	ds_read2_b64 v[24:27], v73 offset0:100 offset1:151
	v_pk_fma_f32 v[20:21], v[20:21], 0.5, v[16:17] op_sel_hi:[1,0,1] neg_lo:[1,0,0] neg_hi:[1,0,0]
	v_accvgpr_write_b32 a86, v44
	v_pk_add_f32 v[36:37], v[20:21], v[28:29] op_sel:[0,1] op_sel_hi:[1,0]
	v_pk_add_f32 v[20:21], v[20:21], v[28:29] op_sel:[0,1] op_sel_hi:[1,0] neg_lo:[0,1] neg_hi:[0,1]
	s_waitcnt lgkmcnt(0)
	v_pk_mul_f32 v[28:29], v[24:25], v[82:83] op_sel:[0,1]
	v_mov_b32_e32 v38, v36
	v_mov_b32_e32 v39, v21
	;; [unrolled: 1-line block ×3, first 2 shown]
	v_pk_fma_f32 v[36:37], v[24:25], v[82:83], v[28:29] op_sel:[0,0,1] op_sel_hi:[1,1,0] neg_lo:[0,0,1] neg_hi:[0,0,1]
	v_pk_fma_f32 v[24:25], v[24:25], v[82:83], v[28:29] op_sel:[0,0,1] op_sel_hi:[1,0,0]
	v_accvgpr_write_b32 a93, v51
	v_mov_b32_e32 v37, v25
	v_pk_mul_f32 v[24:25], v[22:23], v[12:13] op_sel_hi:[1,0]
	v_mov_b32_e32 v12, v51
	v_pk_fma_f32 v[28:29], v[22:23], v[84:85], v[24:25] op_sel:[0,0,1] op_sel_hi:[1,1,0] neg_lo:[0,0,1] neg_hi:[0,0,1]
	v_pk_fma_f32 v[22:23], v[22:23], v[84:85], v[24:25] op_sel:[0,0,1] op_sel_hi:[1,0,0]
	v_accvgpr_write_b32 a92, v50
	v_mov_b32_e32 v29, v23
	v_pk_add_f32 v[22:23], v[18:19], v[36:37]
	v_accvgpr_write_b32 a91, v49
	v_pk_add_f32 v[40:41], v[22:23], v[28:29]
	v_pk_add_f32 v[22:23], v[36:37], v[28:29]
	v_accvgpr_write_b32 a90, v48
	v_pk_fma_f32 v[18:19], v[22:23], 0.5, v[18:19] op_sel_hi:[1,0,1] neg_lo:[1,0,0] neg_hi:[1,0,0]
	v_pk_add_f32 v[22:23], v[36:37], v[28:29] neg_lo:[0,1] neg_hi:[0,1]
	v_pk_mul_f32 v[28:29], v[26:27], v[48:49] op_sel:[0,1]
	v_pk_mul_f32 v[22:23], v[22:23], s[8:9] op_sel_hi:[1,0]
	v_pk_fma_f32 v[42:43], v[26:27], v[48:49], v[28:29] op_sel:[0,0,1] op_sel_hi:[1,1,0] neg_lo:[0,0,1] neg_hi:[0,0,1]
	v_pk_add_f32 v[24:25], v[18:19], v[22:23] op_sel:[0,1] op_sel_hi:[1,0]
	v_pk_add_f32 v[18:19], v[18:19], v[22:23] op_sel:[0,1] op_sel_hi:[1,0] neg_lo:[0,1] neg_hi:[0,1]
	v_mov_b32_e32 v36, v24
	v_mov_b32_e32 v37, v19
	;; [unrolled: 1-line block ×3, first 2 shown]
	ds_write2_b64 v76, v[20:21], v[18:19] offset0:98 offset1:149
	ds_read2_b64 v[18:21], v100 offset0:102 offset1:153
	ds_read2_b64 v[22:25], v76 offset0:200 offset1:251
	v_pk_fma_f32 v[26:27], v[26:27], v[48:49], v[28:29] op_sel:[0,0,1] op_sel_hi:[1,0,0]
	v_pk_add_f32 v[16:17], v[16:17], v[30:31]
	v_mov_b32_e32 v43, v27
	v_pk_add_f32 v[16:17], v[16:17], v[34:35]
	s_waitcnt lgkmcnt(0)
	v_pk_mul_f32 v[26:27], v[22:23], v[12:13] op_sel_hi:[1,0]
	v_mov_b32_e32 v12, v89
	v_pk_fma_f32 v[28:29], v[22:23], v[50:51], v[26:27] op_sel:[0,0,1] op_sel_hi:[1,1,0] neg_lo:[0,0,1] neg_hi:[0,0,1]
	v_pk_fma_f32 v[22:23], v[22:23], v[50:51], v[26:27] op_sel:[0,0,1] op_sel_hi:[1,0,0]
	v_mov_b32_e32 v106, v32
	v_mov_b32_e32 v29, v23
	v_pk_add_f32 v[22:23], v[18:19], v[42:43]
	v_mov_b32_e32 v107, v105
	v_pk_add_f32 v[44:45], v[22:23], v[28:29]
	v_pk_add_f32 v[22:23], v[42:43], v[28:29]
	v_mov_b32_e32 v105, v33
	v_pk_fma_f32 v[18:19], v[22:23], 0.5, v[18:19] op_sel_hi:[1,0,1] neg_lo:[1,0,0] neg_hi:[1,0,0]
	v_pk_add_f32 v[22:23], v[42:43], v[28:29] neg_lo:[0,1] neg_hi:[0,1]
	ds_read2_b64 v[26:29], v73 offset0:202 offset1:253
	v_pk_mul_f32 v[22:23], v[22:23], s[8:9] op_sel_hi:[1,0]
	v_mov_b32_e32 v132, v14
	v_pk_add_f32 v[42:43], v[18:19], v[22:23] op_sel:[0,1] op_sel_hi:[1,0]
	v_pk_add_f32 v[18:19], v[18:19], v[22:23] op_sel:[0,1] op_sel_hi:[1,0] neg_lo:[0,1] neg_hi:[0,1]
	v_mov_b32_e32 v22, v42
	v_mov_b32_e32 v23, v19
	ds_write2_b64 v73, v[36:37], v[22:23] offset0:100 offset1:151
	s_waitcnt lgkmcnt(1)
	v_pk_mul_f32 v[22:23], v[26:27], v[86:87] op_sel:[0,1]
	v_mov_b32_e32 v19, v43
	v_pk_fma_f32 v[36:37], v[26:27], v[86:87], v[22:23] op_sel:[0,0,1] op_sel_hi:[1,1,0] neg_lo:[0,0,1] neg_hi:[0,0,1]
	v_pk_fma_f32 v[22:23], v[26:27], v[86:87], v[22:23] op_sel:[0,0,1] op_sel_hi:[1,0,0]
	v_mov_b32_e32 v133, v135
	v_mov_b32_e32 v37, v23
	v_pk_mul_f32 v[22:23], v[24:25], v[12:13] op_sel_hi:[1,0]
	s_waitcnt vmcnt(1)
	v_mov_b32_e32 v12, v93
	v_pk_fma_f32 v[26:27], v[24:25], v[88:89], v[22:23] op_sel:[0,0,1] op_sel_hi:[1,1,0] neg_lo:[0,0,1] neg_hi:[0,0,1]
	v_pk_fma_f32 v[22:23], v[24:25], v[88:89], v[22:23] op_sel:[0,0,1] op_sel_hi:[1,0,0]
	v_mov_b32_e32 v135, v15
	v_mov_b32_e32 v27, v23
	v_pk_add_f32 v[22:23], v[20:21], v[36:37]
	s_waitcnt vmcnt(0)
	v_accvgpr_write_b32 a85, v67
	v_pk_add_f32 v[42:43], v[22:23], v[26:27]
	v_pk_add_f32 v[22:23], v[36:37], v[26:27]
	v_accvgpr_write_b32 a84, v66
	v_pk_fma_f32 v[20:21], v[22:23], 0.5, v[20:21] op_sel_hi:[1,0,1] neg_lo:[1,0,0] neg_hi:[1,0,0]
	v_pk_add_f32 v[22:23], v[36:37], v[26:27] neg_lo:[0,1] neg_hi:[0,1]
	v_pk_mul_f32 v[36:37], v[28:29], v[90:91] op_sel:[0,1]
	v_pk_mul_f32 v[22:23], v[22:23], s[8:9] op_sel_hi:[1,0]
	v_pk_fma_f32 v[46:47], v[28:29], v[90:91], v[36:37] op_sel:[0,0,1] op_sel_hi:[1,1,0] neg_lo:[0,0,1] neg_hi:[0,0,1]
	v_pk_add_f32 v[24:25], v[20:21], v[22:23] op_sel:[0,1] op_sel_hi:[1,0]
	v_pk_add_f32 v[20:21], v[20:21], v[22:23] op_sel:[0,1] op_sel_hi:[1,0] neg_lo:[0,1] neg_hi:[0,1]
	v_mov_b32_e32 v26, v24
	v_mov_b32_e32 v27, v21
	;; [unrolled: 1-line block ×3, first 2 shown]
	ds_write2_b64 v76, v[18:19], v[20:21] offset0:200 offset1:251
	ds_read2_b64 v[18:21], v100 offset0:204 offset1:255
	ds_read2_b64 v[22:25], v72 offset0:46 offset1:97
	v_pk_fma_f32 v[28:29], v[28:29], v[90:91], v[36:37] op_sel:[0,0,1] op_sel_hi:[1,0,0]
	ds_write2_b64 v100, v[16:17], v[40:41] offset1:51
	ds_write2_b64 v100, v[44:45], v[42:43] offset0:102 offset1:153
	v_mov_b32_e32 v47, v29
	v_accvgpr_write_b32 a83, v65
	s_waitcnt lgkmcnt(2)
	v_pk_mul_f32 v[28:29], v[22:23], v[12:13] op_sel_hi:[1,0]
	v_mov_b32_e32 v12, v67
	v_pk_fma_f32 v[36:37], v[22:23], v[92:93], v[28:29] op_sel:[0,0,1] op_sel_hi:[1,1,0] neg_lo:[0,0,1] neg_hi:[0,0,1]
	v_pk_fma_f32 v[22:23], v[22:23], v[92:93], v[28:29] op_sel:[0,0,1] op_sel_hi:[1,0,0]
	v_pk_mul_f32 v[28:29], v[128:129], v[64:65] op_sel:[0,1]
	v_mov_b32_e32 v37, v23
	v_pk_fma_f32 v[48:49], v[128:129], v[64:65], v[28:29] op_sel:[0,0,1] op_sel_hi:[1,1,0] neg_lo:[0,0,1] neg_hi:[0,0,1]
	v_pk_fma_f32 v[28:29], v[128:129], v[64:65], v[28:29] op_sel:[0,0,1] op_sel_hi:[1,0,0]
	v_pk_add_f32 v[16:17], v[46:47], v[36:37]
	v_mov_b32_e32 v49, v29
	v_pk_mul_f32 v[28:29], v[24:25], v[12:13] op_sel_hi:[1,0]
	v_pk_add_f32 v[22:23], v[18:19], v[46:47]
	v_pk_fma_f32 v[50:51], v[24:25], v[66:67], v[28:29] op_sel:[0,0,1] op_sel_hi:[1,1,0] neg_lo:[0,0,1] neg_hi:[0,0,1]
	v_pk_fma_f32 v[24:25], v[24:25], v[66:67], v[28:29] op_sel:[0,0,1] op_sel_hi:[1,0,0]
	v_pk_fma_f32 v[16:17], v[16:17], 0.5, v[18:19] op_sel_hi:[1,0,1] neg_lo:[1,0,0] neg_hi:[1,0,0]
	v_mov_b32_e32 v51, v25
	v_pk_add_f32 v[24:25], v[20:21], v[48:49]
	v_pk_add_f32 v[28:29], v[48:49], v[50:51]
	v_pk_add_f32 v[48:49], v[48:49], v[50:51] neg_lo:[0,1] neg_hi:[0,1]
	v_pk_add_f32 v[18:19], v[46:47], v[36:37] neg_lo:[0,1] neg_hi:[0,1]
	v_pk_fma_f32 v[20:21], v[28:29], 0.5, v[20:21] op_sel_hi:[1,0,1] neg_lo:[1,0,0] neg_hi:[1,0,0]
	v_pk_mul_f32 v[28:29], v[48:49], s[8:9] op_sel_hi:[1,0]
	v_pk_mul_f32 v[18:19], v[18:19], s[8:9] op_sel_hi:[1,0]
	v_pk_add_f32 v[48:49], v[20:21], v[28:29] op_sel:[0,1] op_sel_hi:[1,0] neg_lo:[0,1] neg_hi:[0,1]
	v_pk_add_f32 v[20:21], v[20:21], v[28:29] op_sel:[0,1] op_sel_hi:[1,0]
	v_pk_add_f32 v[28:29], v[16:17], v[18:19] op_sel:[0,1] op_sel_hi:[1,0]
	v_pk_add_f32 v[16:17], v[16:17], v[18:19] op_sel:[0,1] op_sel_hi:[1,0] neg_lo:[0,1] neg_hi:[0,1]
	v_pk_add_f32 v[22:23], v[22:23], v[36:37]
	v_pk_add_f32 v[24:25], v[24:25], v[50:51]
	v_mov_b32_e32 v128, v48
	v_mov_b32_e32 v129, v21
	;; [unrolled: 1-line block ×5, first 2 shown]
	v_lshlrev_b32_e32 v12, 3, v102
	ds_write2_b64 v73, v[26:27], v[18:19] offset0:202 offset1:253
	ds_write2_b64 v100, v[22:23], v[24:25] offset0:204 offset1:255
	v_mov_b32_e32 v21, v49
	ds_write2_b64 v72, v[16:17], v[128:129] offset0:46 offset1:97
	ds_write2_b64 v71, v[20:21], v[132:133] offset0:48 offset1:99
	ds_write2_b64 v70, v[130:131], v[0:1] offset0:50 offset1:101
	ds_write2_b64 v72, v[134:135], v[94:95] offset0:148 offset1:199
	ds_write2_b64 v71, v[2:3], v[104:105] offset0:150 offset1:201
	ds_write2_b64 v70, v[96:97], v[108:109] offset0:152 offset1:203
	ds_write2_b64 v74, v[106:107], v[114:115] offset0:122 offset1:173
	ds_write2_b64 v75, v[116:117], v[38:39] offset0:126 offset1:177
	ds_write2_b64 v55, v[110:111], v[156:157] offset0:124 offset1:175
	ds_write_b64 v100, v[158:159] offset:13056
	s_waitcnt lgkmcnt(0)
	; wave barrier
	s_waitcnt lgkmcnt(0)
	global_load_dwordx2 v[22:23], v12, s[14:15]
	global_load_dwordx2 v[24:25], v12, s[14:15] offset:792
	global_load_dwordx2 v[26:27], v12, s[14:15] offset:1584
	;; [unrolled: 1-line block ×5, first 2 shown]
	v_lshl_add_u64 v[12:13], s[14:15], 0, v[12:13]
	v_add_co_u32_e32 v16, vcc, s9, v12
	v_accvgpr_write_b32 a82, v64
	s_nop 0
	v_addc_co_u32_e32 v17, vcc, 0, v13, vcc
	global_load_dwordx2 v[34:35], v[16:17], off offset:656
	global_load_dwordx2 v[36:37], v[16:17], off offset:1448
	;; [unrolled: 1-line block ×5, first 2 shown]
	v_add_co_u32_e32 v14, vcc, s0, v12
	v_accvgpr_write_b32 a185, v3
	s_nop 0
	v_addc_co_u32_e32 v15, vcc, 0, v13, vcc
	global_load_dwordx2 v[44:45], v[14:15], off offset:520
	global_load_dwordx2 v[46:47], v[14:15], off offset:1312
	;; [unrolled: 1-line block ×3, first 2 shown]
	ds_read2_b64 v[18:21], v100 offset1:99
	global_load_dwordx2 v[50:51], v[14:15], off offset:2896
	global_load_dwordx2 v[52:53], v[14:15], off offset:3688
	v_add_co_u32_e32 v64, vcc, 0x3000, v12
	v_accvgpr_write_b32 a184, v2
	s_nop 0
	v_addc_co_u32_e32 v65, vcc, 0, v13, vcc
	global_load_dwordx2 v[64:65], v[64:65], off offset:384
	v_accvgpr_write_b32 a183, v1
	v_accvgpr_write_b32 a182, v0
	v_accvgpr_write_b32 a97, v93
	v_accvgpr_write_b32 a227, v97
	v_accvgpr_write_b32 a237, v107
	v_accvgpr_write_b32 a245, v117
	v_accvgpr_write_b32 a241, v111
	v_accvgpr_write_b32 a96, v92
	v_accvgpr_write_b32 a95, v91
	v_accvgpr_write_b32 a94, v90
	v_accvgpr_write_b32 a226, v96
	v_accvgpr_write_b32 a225, v95
	v_accvgpr_write_b32 a224, v94
	v_accvgpr_write_b32 a236, v106
	v_accvgpr_write_b32 a235, v105
	v_accvgpr_write_b32 a234, v104
	v_accvgpr_write_b32 a244, v116
	v_accvgpr_write_b32 a243, v115
	v_accvgpr_write_b32 a242, v114
	v_accvgpr_write_b32 a240, v110
	v_accvgpr_write_b32 a239, v109
	v_accvgpr_write_b32 a238, v108
	s_waitcnt vmcnt(16) lgkmcnt(0)
	v_mul_f32_e32 v0, v19, v23
	v_mul_f32_e32 v67, v18, v23
	v_fma_f32 v66, v18, v22, -v0
	v_fmac_f32_e32 v67, v19, v22
	s_waitcnt vmcnt(15)
	v_mul_f32_e32 v0, v21, v25
	v_mul_f32_e32 v19, v20, v25
	v_fma_f32 v18, v20, v24, -v0
	v_fmac_f32_e32 v19, v21, v24
	ds_write2_b64 v100, v[66:67], v[18:19] offset1:99
	v_add_u32_e32 v18, 0x400, v100
	ds_read2_b64 v[20:23], v18 offset0:70 offset1:169
	v_add_u32_e32 v19, 0x2400, v100
	s_waitcnt vmcnt(14) lgkmcnt(0)
	v_mul_f32_e32 v0, v21, v27
	v_mul_f32_e32 v67, v20, v27
	v_fma_f32 v66, v20, v26, -v0
	v_fmac_f32_e32 v67, v21, v26
	ds_read2_b64 v[24:27], v70 offset0:140 offset1:239
	s_waitcnt vmcnt(13)
	v_mul_f32_e32 v0, v23, v29
	v_mul_f32_e32 v21, v22, v29
	v_fma_f32 v20, v22, v28, -v0
	v_fmac_f32_e32 v21, v23, v28
	ds_write2_b64 v18, v[66:67], v[20:21] offset0:70 offset1:169
	ds_read2_b64 v[20:23], v73 offset0:82 offset1:181
	s_waitcnt vmcnt(12) lgkmcnt(2)
	v_mul_f32_e32 v0, v25, v31
	v_mul_f32_e32 v29, v24, v31
	v_fma_f32 v28, v24, v30, -v0
	v_fmac_f32_e32 v29, v25, v30
	s_waitcnt vmcnt(11)
	v_mul_f32_e32 v0, v27, v33
	v_mul_f32_e32 v25, v26, v33
	v_fma_f32 v24, v26, v32, -v0
	v_fmac_f32_e32 v25, v27, v32
	ds_write2_b64 v70, v[28:29], v[24:25] offset0:140 offset1:239
	s_waitcnt vmcnt(10) lgkmcnt(1)
	v_mul_f32_e32 v0, v21, v35
	v_mul_f32_e32 v29, v20, v35
	ds_read2_b64 v[24:27], v71 offset0:24 offset1:123
	v_fma_f32 v28, v20, v34, -v0
	v_fmac_f32_e32 v29, v21, v34
	s_waitcnt vmcnt(9)
	v_mul_f32_e32 v0, v23, v37
	v_mul_f32_e32 v21, v22, v37
	v_fma_f32 v20, v22, v36, -v0
	v_fmac_f32_e32 v21, v23, v36
	ds_write2_b64 v73, v[28:29], v[20:21] offset0:82 offset1:181
	ds_read2_b64 v[20:23], v55 offset0:94 offset1:193
	s_waitcnt vmcnt(8) lgkmcnt(2)
	v_mul_f32_e32 v0, v25, v39
	v_mul_f32_e32 v29, v24, v39
	v_fma_f32 v28, v24, v38, -v0
	v_fmac_f32_e32 v29, v25, v38
	s_waitcnt vmcnt(7)
	v_mul_f32_e32 v0, v27, v41
	v_mul_f32_e32 v25, v26, v41
	v_fma_f32 v24, v26, v40, -v0
	v_fmac_f32_e32 v25, v27, v40
	ds_write2_b64 v71, v[28:29], v[24:25] offset0:24 offset1:123
	s_waitcnt vmcnt(6) lgkmcnt(1)
	v_mul_f32_e32 v0, v21, v43
	v_mul_f32_e32 v29, v20, v43
	ds_read2_b64 v[24:27], v19 offset0:36 offset1:135
	v_fma_f32 v28, v20, v42, -v0
	v_fmac_f32_e32 v29, v21, v42
	s_waitcnt vmcnt(5)
	v_mul_f32_e32 v0, v23, v45
	v_mul_f32_e32 v21, v22, v45
	v_fma_f32 v20, v22, v44, -v0
	v_fmac_f32_e32 v21, v23, v44
	ds_write2_b64 v55, v[28:29], v[20:21] offset0:94 offset1:193
	ds_read2_b64 v[20:23], v72 offset0:106 offset1:205
	s_waitcnt vmcnt(4) lgkmcnt(2)
	v_mul_f32_e32 v0, v25, v47
	v_mul_f32_e32 v29, v24, v47
	v_fma_f32 v28, v24, v46, -v0
	v_fmac_f32_e32 v29, v25, v46
	s_waitcnt vmcnt(3)
	v_mul_f32_e32 v0, v27, v49
	v_mul_f32_e32 v25, v26, v49
	v_fma_f32 v24, v26, v48, -v0
	v_fmac_f32_e32 v25, v27, v48
	ds_write2_b64 v19, v[28:29], v[24:25] offset0:36 offset1:135
	s_waitcnt vmcnt(2) lgkmcnt(1)
	v_mul_f32_e32 v0, v21, v51
	v_mul_f32_e32 v25, v20, v51
	v_fma_f32 v24, v20, v50, -v0
	v_fmac_f32_e32 v25, v21, v50
	ds_read_b64 v[20:21], v100 offset:12672
	s_waitcnt vmcnt(1)
	v_mul_f32_e32 v0, v23, v53
	v_mul_f32_e32 v27, v22, v53
	v_fma_f32 v26, v22, v52, -v0
	v_fmac_f32_e32 v27, v23, v52
	s_waitcnt vmcnt(0) lgkmcnt(0)
	v_mul_f32_e32 v0, v21, v65
	v_mul_f32_e32 v23, v20, v65
	v_fma_f32 v22, v20, v64, -v0
	v_fmac_f32_e32 v23, v21, v64
	ds_write2_b64 v72, v[24:25], v[26:27] offset0:106 offset1:205
	ds_write_b64 v100, v[22:23] offset:12672
	s_and_saveexec_b64 s[0:1], s[2:3]
	s_cbranch_execz .LBB0_9
; %bb.8:
	global_load_dwordx2 v[24:25], v[12:13], off offset:408
	ds_read2_b64 v[20:23], v100 offset0:51 offset1:150
	v_accvgpr_read_b32 v2, a2
	s_waitcnt vmcnt(0) lgkmcnt(0)
	v_mul_f32_e32 v0, v21, v25
	v_mul_f32_e32 v27, v20, v25
	v_fma_f32 v26, v20, v24, -v0
	v_fmac_f32_e32 v27, v21, v24
	global_load_dwordx2 v[20:21], v[12:13], off offset:1200
	s_waitcnt vmcnt(0)
	v_mul_f32_e32 v0, v23, v21
	v_mul_f32_e32 v25, v22, v21
	v_fma_f32 v24, v22, v20, -v0
	v_fmac_f32_e32 v25, v23, v20
	ds_write2_b64 v100, v[26:27], v[24:25] offset0:51 offset1:150
	global_load_dwordx2 v[24:25], v[12:13], off offset:1992
	ds_read2_b64 v[20:23], v18 offset0:121 offset1:220
	s_waitcnt vmcnt(0) lgkmcnt(0)
	v_mul_f32_e32 v0, v21, v25
	v_mul_f32_e32 v27, v20, v25
	v_fma_f32 v26, v20, v24, -v0
	v_fmac_f32_e32 v27, v21, v24
	global_load_dwordx2 v[20:21], v[12:13], off offset:2784
	s_waitcnt vmcnt(0)
	v_mul_f32_e32 v0, v23, v21
	v_mul_f32_e32 v25, v22, v21
	v_fma_f32 v24, v22, v20, -v0
	v_fmac_f32_e32 v25, v23, v20
	ds_write2_b64 v18, v[26:27], v[24:25] offset0:121 offset1:220
	global_load_dwordx2 v[24:25], v[12:13], off offset:3576
	ds_read2_b64 v[20:23], v75 offset0:63 offset1:162
	v_add_co_u32_e32 v12, vcc, 0x3000, v12
	s_waitcnt vmcnt(0) lgkmcnt(0)
	v_mul_f32_e32 v0, v21, v25
	v_mul_f32_e32 v27, v20, v25
	v_fma_f32 v26, v20, v24, -v0
	v_fmac_f32_e32 v27, v21, v24
	global_load_dwordx2 v[20:21], v[16:17], off offset:272
	v_addc_co_u32_e32 v13, vcc, 0, v13, vcc
	global_load_dwordx2 v[12:13], v[12:13], off offset:792
	s_waitcnt vmcnt(1)
	v_mul_f32_e32 v0, v23, v21
	v_mul_f32_e32 v25, v22, v21
	v_fma_f32 v24, v22, v20, -v0
	v_fmac_f32_e32 v25, v23, v20
	ds_write2_b64 v75, v[26:27], v[24:25] offset0:63 offset1:162
	global_load_dwordx2 v[24:25], v[16:17], off offset:1064
	ds_read2_b64 v[20:23], v73 offset0:133 offset1:232
	s_waitcnt vmcnt(0) lgkmcnt(0)
	v_mul_f32_e32 v0, v21, v25
	v_mul_f32_e32 v27, v20, v25
	v_fma_f32 v26, v20, v24, -v0
	v_fmac_f32_e32 v27, v21, v24
	global_load_dwordx2 v[20:21], v[16:17], off offset:1856
	s_waitcnt vmcnt(0)
	v_mul_f32_e32 v0, v23, v21
	v_mul_f32_e32 v25, v22, v21
	v_fma_f32 v24, v22, v20, -v0
	v_fmac_f32_e32 v25, v23, v20
	ds_write2_b64 v73, v[26:27], v[24:25] offset0:133 offset1:232
	global_load_dwordx2 v[24:25], v[16:17], off offset:2648
	ds_read2_b64 v[20:23], v71 offset0:75 offset1:174
	global_load_dwordx2 v[16:17], v[16:17], off offset:3440
	s_waitcnt vmcnt(1) lgkmcnt(0)
	v_mul_f32_e32 v0, v21, v25
	v_mul_f32_e32 v27, v20, v25
	v_fma_f32 v26, v20, v24, -v0
	v_fmac_f32_e32 v27, v21, v24
	s_waitcnt vmcnt(0)
	v_mul_f32_e32 v0, v23, v17
	v_mul_f32_e32 v21, v22, v17
	v_fma_f32 v20, v22, v16, -v0
	v_fmac_f32_e32 v21, v23, v16
	global_load_dwordx2 v[16:17], v[14:15], off offset:136
	ds_write2_b64 v71, v[26:27], v[20:21] offset0:75 offset1:174
	ds_read2_b64 v[20:23], v76 offset0:17 offset1:116
	s_waitcnt vmcnt(0) lgkmcnt(0)
	v_mul_f32_e32 v0, v21, v17
	v_mul_f32_e32 v25, v20, v17
	v_fma_f32 v24, v20, v16, -v0
	v_fmac_f32_e32 v25, v21, v16
	global_load_dwordx2 v[16:17], v[14:15], off offset:928
	s_waitcnt vmcnt(0)
	v_mul_f32_e32 v0, v23, v17
	v_mul_f32_e32 v21, v22, v17
	v_fma_f32 v20, v22, v16, -v0
	v_fmac_f32_e32 v21, v23, v16
	global_load_dwordx2 v[16:17], v[14:15], off offset:1720
	ds_write2_b64 v76, v[24:25], v[20:21] offset0:17 offset1:116
	ds_read2_b64 v[20:23], v19 offset0:87 offset1:186
	s_waitcnt vmcnt(0) lgkmcnt(0)
	v_mul_f32_e32 v0, v21, v17
	v_mul_f32_e32 v25, v20, v17
	v_fma_f32 v24, v20, v16, -v0
	v_fmac_f32_e32 v25, v21, v16
	global_load_dwordx2 v[16:17], v[14:15], off offset:2512
	s_waitcnt vmcnt(0)
	v_mul_f32_e32 v0, v23, v17
	global_load_dwordx2 v[14:15], v[14:15], off offset:3304
	v_mul_f32_e32 v21, v22, v17
	v_fma_f32 v20, v22, v16, -v0
	v_fmac_f32_e32 v21, v23, v16
	ds_write2_b64 v19, v[24:25], v[20:21] offset0:87 offset1:186
	ds_read2_b64 v[20:23], v74 offset0:29 offset1:128
	s_waitcnt vmcnt(0) lgkmcnt(0)
	v_mul_f32_e32 v0, v21, v15
	v_fma_f32 v16, v20, v14, -v0
	v_mov_b32_e32 v0, 0x3000
	v_mul_f32_e32 v17, v20, v15
	v_lshl_or_b32 v0, v2, 3, v0
	v_fmac_f32_e32 v17, v21, v14
	global_load_dwordx2 v[14:15], v0, s[14:15]
	s_waitcnt vmcnt(0)
	v_mul_f32_e32 v0, v23, v15
	v_mul_f32_e32 v21, v22, v15
	v_fma_f32 v20, v22, v14, -v0
	v_fmac_f32_e32 v21, v23, v14
	ds_read_b64 v[14:15], v100 offset:13080
	ds_write2_b64 v74, v[16:17], v[20:21] offset0:29 offset1:128
	s_waitcnt lgkmcnt(1)
	v_mul_f32_e32 v0, v15, v13
	v_mul_f32_e32 v17, v14, v13
	v_fma_f32 v16, v14, v12, -v0
	v_fmac_f32_e32 v17, v15, v12
	ds_write_b64 v100, v[16:17] offset:13080
.LBB0_9:
	s_or_b64 exec, exec, s[0:1]
	s_waitcnt lgkmcnt(0)
	; wave barrier
	s_waitcnt lgkmcnt(0)
	ds_read2_b64 v[160:163], v100 offset1:99
	ds_read2_b64 v[184:187], v18 offset0:70 offset1:169
	ds_read2_b64 v[176:179], v70 offset0:140 offset1:239
	;; [unrolled: 1-line block ×7, first 2 shown]
	ds_read_b64 v[12:13], v100 offset:12672
	v_accvgpr_write_b32 a78, v86
	v_accvgpr_write_b32 a74, v82
	;; [unrolled: 1-line block ×29, first 2 shown]
	s_and_saveexec_b64 s[0:1], s[2:3]
	s_cbranch_execz .LBB0_11
; %bb.10:
	v_accvgpr_read_b32 v2, a0
	v_add_u32_e32 v0, 0x400, v2
	ds_read2_b64 v[132:135], v0 offset0:121 offset1:220
	v_add_u32_e32 v0, 0xc00, v2
	ds_read2_b64 a[182:185], v0 offset0:63 offset1:162
	;; [unrolled: 2-line block ×7, first 2 shown]
	ds_read2_b64 v[156:159], v0 offset0:29 offset1:128
	ds_read_b64 a[128:129], v2 offset:13080
.LBB0_11:
	s_or_b64 exec, exec, s[0:1]
	s_waitcnt lgkmcnt(8)
	v_pk_add_f32 v[14:15], v[160:161], v[162:163]
	s_waitcnt lgkmcnt(0)
	v_pk_add_f32 v[24:25], v[162:163], v[12:13] neg_lo:[0,1] neg_hi:[0,1]
	v_pk_add_f32 v[14:15], v[14:15], v[184:185]
	s_mov_b32 s26, 0xbeb8f4ab
	v_pk_add_f32 v[14:15], v[14:15], v[186:187]
	v_pk_add_f32 v[20:21], v[12:13], v[162:163]
	v_pk_add_f32 v[14:15], v[14:15], v[176:177]
	s_mov_b32 s16, 0x3f6eb680
	v_pk_add_f32 v[14:15], v[14:15], v[178:179]
	v_pk_add_f32 v[28:29], v[184:185], v[190:191] neg_lo:[0,1] neg_hi:[0,1]
	v_pk_add_f32 v[14:15], v[14:15], v[168:169]
	s_mov_b32 s38, 0xbf2c7751
	v_pk_add_f32 v[14:15], v[14:15], v[170:171]
	v_pk_add_f32 v[26:27], v[190:191], v[184:185]
	;; [unrolled: 1-line block ×3, first 2 shown]
	s_mov_b32 s0, 0x3f3d2fb0
	v_pk_add_f32 v[14:15], v[14:15], v[166:167]
	v_pk_mul_f32 v[16:17], v[28:29], s[38:39] op_sel_hi:[1,0]
	v_pk_add_f32 v[14:15], v[14:15], v[172:173]
	v_pk_fma_f32 v[200:201], v[26:27], s[0:1], v[16:17] op_sel:[0,0,1] op_sel_hi:[1,0,0] neg_lo:[0,0,1] neg_hi:[0,0,1]
	v_pk_add_f32 v[14:15], v[14:15], v[174:175]
	v_pk_add_f32 v[194:195], v[186:187], v[188:189] neg_lo:[0,1] neg_hi:[0,1]
	v_pk_add_f32 v[14:15], v[14:15], v[180:181]
	s_mov_b32 s48, 0xbf65296c
	v_pk_add_f32 v[14:15], v[14:15], v[182:183]
	v_pk_add_f32 v[30:31], v[188:189], v[186:187]
	;; [unrolled: 1-line block ×3, first 2 shown]
	s_mov_b32 s8, 0x3ee437d1
	v_pk_add_f32 v[14:15], v[14:15], v[190:191]
	v_pk_add_f32 v[32:33], v[182:183], v[176:177]
	;; [unrolled: 1-line block ×3, first 2 shown]
	v_pk_mul_f32 v[12:13], v[24:25], s[26:27] op_sel_hi:[1,0]
	v_pk_add_f32 v[182:183], v[176:177], v[182:183] neg_lo:[0,1] neg_hi:[0,1]
	v_pk_fma_f32 v[0:1], v[20:21], s[16:17], v[12:13] op_sel:[0,0,1] op_sel_hi:[1,0,0]
	v_pk_fma_f32 v[202:203], v[20:21], s[16:17], v[12:13] op_sel:[0,0,1] op_sel_hi:[1,0,0] neg_lo:[0,0,1] neg_hi:[0,0,1]
	v_mov_b32_e32 v12, v0
	v_accvgpr_write_b32 a195, v1
	v_mov_b32_e32 v13, v203
	v_pk_fma_f32 v[0:1], v[26:27], s[0:1], v[16:17] op_sel:[0,0,1] op_sel_hi:[1,0,0]
	v_pk_add_f32 v[12:13], v[160:161], v[12:13]
	v_mov_b32_e32 v16, v0
	v_mov_b32_e32 v17, v201
	v_pk_add_f32 v[12:13], v[16:17], v[12:13]
	v_pk_mul_f32 v[16:17], v[194:195], s[48:49] op_sel_hi:[1,0]
	v_accvgpr_write_b32 a191, v1
	v_pk_fma_f32 v[0:1], v[30:31], s[8:9], v[16:17] op_sel:[0,0,1] op_sel_hi:[1,0,0]
	v_pk_fma_f32 v[242:243], v[30:31], s[8:9], v[16:17] op_sel:[0,0,1] op_sel_hi:[1,0,0] neg_lo:[0,0,1] neg_hi:[0,0,1]
	v_mov_b32_e32 v16, v0
	v_mov_b32_e32 v17, v243
	s_mov_b32 s40, 0xbf7ee86f
	v_pk_add_f32 v[12:13], v[16:17], v[12:13]
	s_mov_b32 s14, 0x3dbcf732
	v_pk_mul_f32 v[16:17], v[182:183], s[40:41] op_sel_hi:[1,0]
	v_accvgpr_write_b32 a197, v1
	v_pk_fma_f32 v[0:1], v[32:33], s[14:15], v[16:17] op_sel:[0,0,1] op_sel_hi:[1,0,0]
	v_pk_fma_f32 v[240:241], v[32:33], s[14:15], v[16:17] op_sel:[0,0,1] op_sel_hi:[1,0,0] neg_lo:[0,0,1] neg_hi:[0,0,1]
	v_mov_b32_e32 v16, v0
	v_mov_b32_e32 v17, v241
	v_pk_add_f32 v[226:227], v[178:179], v[180:181] neg_lo:[0,1] neg_hi:[0,1]
	s_mov_b32 s20, 0xbf763a35
	v_pk_add_f32 v[12:13], v[16:17], v[12:13]
	v_pk_add_f32 v[222:223], v[180:181], v[178:179]
	s_mov_b32 s18, 0xbe8c1d8e
	v_pk_mul_f32 v[16:17], v[226:227], s[20:21] op_sel_hi:[1,0]
	v_accvgpr_write_b32 a201, v1
	v_pk_fma_f32 v[0:1], v[222:223], s[18:19], v[16:17] op_sel:[0,0,1] op_sel_hi:[1,0,0]
	v_pk_fma_f32 v[198:199], v[222:223], s[18:19], v[16:17] op_sel:[0,0,1] op_sel_hi:[1,0,0] neg_lo:[0,0,1] neg_hi:[0,0,1]
	v_mov_b32_e32 v16, v0
	v_mov_b32_e32 v17, v199
	v_pk_add_f32 v[230:231], v[168:169], v[174:175] neg_lo:[0,1] neg_hi:[0,1]
	s_mov_b32 s24, 0xbf4c4adb
	v_pk_add_f32 v[12:13], v[16:17], v[12:13]
	v_pk_add_f32 v[228:229], v[174:175], v[168:169]
	s_mov_b32 s22, 0xbf1a4643
	v_pk_mul_f32 v[16:17], v[230:231], s[24:25] op_sel_hi:[1,0]
	v_accvgpr_write_b32 a205, v1
	v_pk_fma_f32 v[0:1], v[228:229], s[22:23], v[16:17] op_sel:[0,0,1] op_sel_hi:[1,0,0]
	v_pk_fma_f32 v[188:189], v[228:229], s[22:23], v[16:17] op_sel:[0,0,1] op_sel_hi:[1,0,0] neg_lo:[0,0,1] neg_hi:[0,0,1]
	v_mov_b32_e32 v16, v0
	v_mov_b32_e32 v17, v189
	v_pk_add_f32 v[232:233], v[172:173], v[170:171]
	v_pk_add_f32 v[172:173], v[170:171], v[172:173] neg_lo:[0,1] neg_hi:[0,1]
	s_mov_b32 s30, 0xbf06c442
	v_pk_add_f32 v[12:13], v[16:17], v[12:13]
	s_mov_b32 s28, 0xbf59a7d5
	v_pk_mul_f32 v[16:17], v[172:173], s[30:31] op_sel_hi:[1,0]
	v_accvgpr_write_b32 a209, v1
	v_pk_fma_f32 v[0:1], v[232:233], s[28:29], v[16:17] op_sel:[0,0,1] op_sel_hi:[1,0,0]
	v_pk_fma_f32 v[186:187], v[232:233], s[28:29], v[16:17] op_sel:[0,0,1] op_sel_hi:[1,0,0] neg_lo:[0,0,1] neg_hi:[0,0,1]
	v_mov_b32_e32 v16, v0
	v_mov_b32_e32 v17, v187
	v_pk_add_f32 v[38:39], v[164:165], v[166:167] neg_lo:[0,1] neg_hi:[0,1]
	s_mov_b32 s36, 0xbe3c28d5
	v_pk_add_f32 v[12:13], v[16:17], v[12:13]
	v_pk_add_f32 v[36:37], v[166:167], v[164:165]
	s_mov_b32 s34, 0xbf7ba420
	v_pk_mul_f32 v[16:17], v[38:39], s[36:37] op_sel_hi:[1,0]
	v_accvgpr_write_b32 a187, v1
	v_pk_fma_f32 v[0:1], v[36:37], s[34:35], v[16:17] op_sel:[0,0,1] op_sel_hi:[1,0,0]
	v_pk_fma_f32 v[180:181], v[36:37], s[34:35], v[16:17] op_sel:[0,0,1] op_sel_hi:[1,0,0] neg_lo:[0,0,1] neg_hi:[0,0,1]
	v_mov_b32_e32 v16, v0
	v_mov_b32_e32 v17, v181
	v_pk_add_f32 v[12:13], v[16:17], v[12:13]
	s_waitcnt lgkmcnt(0)
	; wave barrier
	ds_write2_b64 v234, v[14:15], v[12:13] offset1:1
	v_pk_mul_f32 v[12:13], v[24:25], s[38:39] op_sel_hi:[1,0]
	v_pk_mul_f32 v[16:17], v[28:29], s[40:41] op_sel_hi:[1,0]
	v_pk_fma_f32 v[210:211], v[20:21], s[0:1], v[12:13] op_sel:[0,0,1] op_sel_hi:[1,0,0]
	v_pk_fma_f32 v[250:251], v[20:21], s[0:1], v[12:13] op_sel:[0,0,1] op_sel_hi:[1,0,0] neg_lo:[0,0,1] neg_hi:[0,0,1]
	v_mov_b32_e32 v12, v210
	v_mov_b32_e32 v13, v251
	v_pk_fma_f32 v[214:215], v[26:27], s[14:15], v[16:17] op_sel:[0,0,1] op_sel_hi:[1,0,0]
	v_pk_fma_f32 v[248:249], v[26:27], s[14:15], v[16:17] op_sel:[0,0,1] op_sel_hi:[1,0,0] neg_lo:[0,0,1] neg_hi:[0,0,1]
	v_pk_add_f32 v[12:13], v[160:161], v[12:13]
	v_mov_b32_e32 v16, v214
	v_mov_b32_e32 v17, v249
	v_pk_add_f32 v[12:13], v[16:17], v[12:13]
	v_pk_mul_f32 v[16:17], v[194:195], s[24:25] op_sel_hi:[1,0]
	s_mov_b32 s54, 0x3f06c442
	v_pk_fma_f32 v[220:221], v[30:31], s[22:23], v[16:17] op_sel:[0,0,1] op_sel_hi:[1,0,0]
	v_pk_fma_f32 v[208:209], v[30:31], s[22:23], v[16:17] op_sel:[0,0,1] op_sel_hi:[1,0,0] neg_lo:[0,0,1] neg_hi:[0,0,1]
	v_mov_b32_e32 v16, v220
	v_mov_b32_e32 v17, v209
	v_pk_add_f32 v[12:13], v[16:17], v[12:13]
	v_pk_mul_f32 v[16:17], v[182:183], s[36:37] op_sel_hi:[1,0]
	v_accvgpr_write_b32 a107, v1
	v_pk_fma_f32 v[224:225], v[32:33], s[34:35], v[16:17] op_sel:[0,0,1] op_sel_hi:[1,0,0]
	v_pk_fma_f32 v[246:247], v[32:33], s[34:35], v[16:17] op_sel:[0,0,1] op_sel_hi:[1,0,0] neg_lo:[0,0,1] neg_hi:[0,0,1]
	v_mov_b32_e32 v16, v224
	v_mov_b32_e32 v17, v247
	v_pk_add_f32 v[12:13], v[16:17], v[12:13]
	v_pk_mul_f32 v[16:17], v[226:227], s[54:55] op_sel_hi:[1,0]
	s_mov_b32 s50, 0x3f763a35
	v_pk_fma_f32 v[0:1], v[222:223], s[28:29], v[16:17] op_sel:[0,0,1] op_sel_hi:[1,0,0]
	v_pk_fma_f32 v[212:213], v[222:223], s[28:29], v[16:17] op_sel:[0,0,1] op_sel_hi:[1,0,0] neg_lo:[0,0,1] neg_hi:[0,0,1]
	v_mov_b32_e32 v16, v0
	v_mov_b32_e32 v17, v213
	v_pk_add_f32 v[16:17], v[16:17], v[12:13]
	v_pk_mul_f32 v[12:13], v[230:231], s[50:51] op_sel_hi:[1,0]
	s_mov_b32 s42, 0x3f65296c
	v_pk_fma_f32 v[18:19], v[228:229], s[18:19], v[12:13] op_sel:[0,0,1] op_sel_hi:[1,0,0]
	v_pk_fma_f32 v[12:13], v[228:229], s[18:19], v[12:13] op_sel:[0,0,1] op_sel_hi:[1,0,0] neg_lo:[0,0,1] neg_hi:[0,0,1]
	v_mov_b32_e32 v189, v19
	v_mov_b32_e32 v19, v13
	v_pk_add_f32 v[16:17], v[18:19], v[16:17]
	v_pk_mul_f32 v[18:19], v[172:173], s[42:43] op_sel_hi:[1,0]
	v_mov_b32_e32 v199, v1
	v_pk_fma_f32 v[0:1], v[232:233], s[8:9], v[18:19] op_sel:[0,0,1] op_sel_hi:[1,0,0]
	v_pk_fma_f32 v[216:217], v[232:233], s[8:9], v[18:19] op_sel:[0,0,1] op_sel_hi:[1,0,0] neg_lo:[0,0,1] neg_hi:[0,0,1]
	v_mov_b32_e32 v18, v0
	v_mov_b32_e32 v19, v217
	s_mov_b32 s44, 0x3eb8f4ab
	v_pk_add_f32 v[16:17], v[18:19], v[16:17]
	v_pk_mul_f32 v[18:19], v[38:39], s[44:45] op_sel_hi:[1,0]
	v_mov_b32_e32 v187, v1
	v_pk_fma_f32 v[0:1], v[36:37], s[16:17], v[18:19] op_sel:[0,0,1] op_sel_hi:[1,0,0]
	v_pk_fma_f32 v[218:219], v[36:37], s[16:17], v[18:19] op_sel:[0,0,1] op_sel_hi:[1,0,0] neg_lo:[0,0,1] neg_hi:[0,0,1]
	v_mov_b32_e32 v18, v0
	v_mov_b32_e32 v19, v219
	v_pk_add_f32 v[22:23], v[18:19], v[16:17]
	v_pk_mul_f32 v[16:17], v[24:25], s[48:49] op_sel_hi:[1,0]
	s_mov_b32 s58, 0x3e3c28d5
	v_pk_fma_f32 v[184:185], v[20:21], s[8:9], v[16:17] op_sel:[0,0,1] op_sel_hi:[1,0,0]
	v_pk_fma_f32 v[166:167], v[20:21], s[8:9], v[16:17] op_sel:[0,0,1] op_sel_hi:[1,0,0] neg_lo:[0,0,1] neg_hi:[0,0,1]
	v_mov_b32_e32 v16, v184
	v_mov_b32_e32 v17, v167
	v_pk_add_f32 v[34:35], v[160:161], v[16:17]
	v_pk_mul_f32 v[16:17], v[28:29], s[24:25] op_sel_hi:[1,0]
	s_mov_b32 s46, 0x3f2c7751
	;; [unrolled: 7-line block ×4, first 2 shown]
	v_pk_fma_f32 v[238:239], v[32:33], s[18:19], v[40:41] op_sel:[0,0,1] op_sel_hi:[1,0,0]
	v_pk_fma_f32 v[190:191], v[32:33], s[18:19], v[40:41] op_sel:[0,0,1] op_sel_hi:[1,0,0] neg_lo:[0,0,1] neg_hi:[0,0,1]
	v_mov_b32_e32 v40, v238
	v_mov_b32_e32 v41, v191
	v_pk_add_f32 v[34:35], v[40:41], v[34:35]
	v_pk_mul_f32 v[40:41], v[226:227], s[46:47] op_sel_hi:[1,0]
	v_pk_mul_f32 v[88:89], v[230:231], s[52:53] op_sel_hi:[1,0]
	v_pk_fma_f32 v[244:245], v[222:223], s[0:1], v[40:41] op_sel:[0,0,1] op_sel_hi:[1,0,0]
	v_pk_fma_f32 v[170:171], v[222:223], s[0:1], v[40:41] op_sel:[0,0,1] op_sel_hi:[1,0,0] neg_lo:[0,0,1] neg_hi:[0,0,1]
	v_mov_b32_e32 v40, v244
	v_mov_b32_e32 v41, v171
	v_pk_add_f32 v[34:35], v[40:41], v[34:35]
	v_pk_mul_f32 v[40:41], v[230:231], s[26:27] op_sel_hi:[1,0]
	v_pk_fma_f32 v[122:123], v[228:229], s[14:15], v[88:89] op_sel:[0,0,1] op_sel_hi:[1,0,0] neg_lo:[0,0,1] neg_hi:[0,0,1]
	v_pk_fma_f32 v[178:179], v[228:229], s[16:17], v[40:41] op_sel:[0,0,1] op_sel_hi:[1,0,0]
	v_pk_fma_f32 v[206:207], v[228:229], s[16:17], v[40:41] op_sel:[0,0,1] op_sel_hi:[1,0,0] neg_lo:[0,0,1] neg_hi:[0,0,1]
	v_mov_b32_e32 v40, v178
	v_mov_b32_e32 v41, v207
	v_pk_add_f32 v[34:35], v[40:41], v[34:35]
	v_pk_mul_f32 v[40:41], v[172:173], s[40:41] op_sel_hi:[1,0]
	v_pk_mul_f32 v[236:237], v[28:29], s[50:51] op_sel_hi:[1,0]
	v_pk_fma_f32 v[204:205], v[232:233], s[14:15], v[40:41] op_sel:[0,0,1] op_sel_hi:[1,0,0]
	v_pk_fma_f32 v[98:99], v[232:233], s[14:15], v[40:41] op_sel:[0,0,1] op_sel_hi:[1,0,0] neg_lo:[0,0,1] neg_hi:[0,0,1]
	v_mov_b32_e32 v40, v204
	v_mov_b32_e32 v41, v99
	v_pk_add_f32 v[34:35], v[40:41], v[34:35]
	v_pk_mul_f32 v[40:41], v[38:39], s[30:31] op_sel_hi:[1,0]
	v_pk_fma_f32 v[100:101], v[26:27], s[18:19], v[236:237] op_sel:[0,0,1] op_sel_hi:[1,0,0]
	v_pk_fma_f32 v[254:255], v[36:37], s[28:29], v[40:41] op_sel:[0,0,1] op_sel_hi:[1,0,0]
	v_pk_fma_f32 v[252:253], v[36:37], s[28:29], v[40:41] op_sel:[0,0,1] op_sel_hi:[1,0,0] neg_lo:[0,0,1] neg_hi:[0,0,1]
	v_mov_b32_e32 v40, v254
	v_mov_b32_e32 v41, v253
	v_pk_add_f32 v[34:35], v[40:41], v[34:35]
	ds_write2_b64 v234, v[22:23], v[34:35] offset0:2 offset1:3
	v_pk_mul_f32 v[22:23], v[24:25], s[40:41] op_sel_hi:[1,0]
	v_pk_mul_f32 v[34:35], v[28:29], s[36:37] op_sel_hi:[1,0]
	v_pk_fma_f32 v[44:45], v[20:21], s[14:15], v[22:23] op_sel:[0,0,1] op_sel_hi:[1,0,0]
	v_pk_fma_f32 v[40:41], v[20:21], s[14:15], v[22:23] op_sel:[0,0,1] op_sel_hi:[1,0,0] neg_lo:[0,0,1] neg_hi:[0,0,1]
	v_mov_b32_e32 v22, v44
	v_mov_b32_e32 v23, v41
	v_pk_fma_f32 v[50:51], v[26:27], s[34:35], v[34:35] op_sel:[0,0,1] op_sel_hi:[1,0,0]
	v_pk_fma_f32 v[48:49], v[26:27], s[34:35], v[34:35] op_sel:[0,0,1] op_sel_hi:[1,0,0] neg_lo:[0,0,1] neg_hi:[0,0,1]
	v_pk_add_f32 v[22:23], v[160:161], v[22:23]
	v_mov_b32_e32 v34, v50
	v_mov_b32_e32 v35, v49
	v_pk_add_f32 v[22:23], v[34:35], v[22:23]
	v_pk_mul_f32 v[34:35], v[194:195], s[50:51] op_sel_hi:[1,0]
	v_pk_fma_f32 v[102:103], v[26:27], s[18:19], v[236:237] op_sel:[0,0,1] op_sel_hi:[1,0,0] neg_lo:[0,0,1] neg_hi:[0,0,1]
	v_pk_fma_f32 v[52:53], v[30:31], s[18:19], v[34:35] op_sel:[0,0,1] op_sel_hi:[1,0,0]
	v_pk_fma_f32 v[54:55], v[30:31], s[18:19], v[34:35] op_sel:[0,0,1] op_sel_hi:[1,0,0] neg_lo:[0,0,1] neg_hi:[0,0,1]
	v_mov_b32_e32 v34, v52
	v_mov_b32_e32 v35, v55
	v_pk_add_f32 v[22:23], v[34:35], v[22:23]
	v_pk_mul_f32 v[34:35], v[182:183], s[44:45] op_sel_hi:[1,0]
	v_mov_b32_e32 v236, v100
	v_pk_fma_f32 v[64:65], v[32:33], s[16:17], v[34:35] op_sel:[0,0,1] op_sel_hi:[1,0,0]
	v_pk_fma_f32 v[46:47], v[32:33], s[16:17], v[34:35] op_sel:[0,0,1] op_sel_hi:[1,0,0] neg_lo:[0,0,1] neg_hi:[0,0,1]
	v_mov_b32_e32 v34, v64
	v_mov_b32_e32 v35, v47
	v_pk_add_f32 v[22:23], v[34:35], v[22:23]
	v_pk_mul_f32 v[34:35], v[226:227], s[48:49] op_sel_hi:[1,0]
	v_mov_b32_e32 v237, v103
	;; [unrolled: 7-line block ×3, first 2 shown]
	v_pk_fma_f32 v[14:15], v[228:229], s[28:29], v[34:35] op_sel:[0,0,1] op_sel_hi:[1,0,0]
	v_pk_fma_f32 v[168:169], v[228:229], s[28:29], v[34:35] op_sel:[0,0,1] op_sel_hi:[1,0,0] neg_lo:[0,0,1] neg_hi:[0,0,1]
	v_mov_b32_e32 v34, v14
	v_mov_b32_e32 v35, v169
	v_pk_add_f32 v[22:23], v[34:35], v[22:23]
	v_pk_mul_f32 v[34:35], v[172:173], s[56:57] op_sel_hi:[1,0]
	v_pk_mul_f32 v[8:9], v[28:29], s[42:43] op_sel_hi:[1,0]
	v_pk_fma_f32 v[174:175], v[232:233], s[22:23], v[34:35] op_sel:[0,0,1] op_sel_hi:[1,0,0]
	v_pk_fma_f32 v[34:35], v[232:233], s[22:23], v[34:35] op_sel:[0,0,1] op_sel_hi:[1,0,0] neg_lo:[0,0,1] neg_hi:[0,0,1]
	v_mov_b32_e32 v66, v174
	v_mov_b32_e32 v67, v35
	v_pk_add_f32 v[66:67], v[66:67], v[22:23]
	v_pk_mul_f32 v[22:23], v[38:39], s[46:47] op_sel_hi:[1,0]
	v_pk_fma_f32 v[94:95], v[26:27], s[8:9], v[8:9] op_sel:[0,0,1] op_sel_hi:[1,0,0]
	v_pk_fma_f32 v[162:163], v[36:37], s[0:1], v[22:23] op_sel:[0,0,1] op_sel_hi:[1,0,0]
	v_pk_fma_f32 v[22:23], v[36:37], s[0:1], v[22:23] op_sel:[0,0,1] op_sel_hi:[1,0,0] neg_lo:[0,0,1] neg_hi:[0,0,1]
	v_mov_b32_e32 v68, v162
	v_mov_b32_e32 v69, v23
	v_pk_add_f32 v[136:137], v[68:69], v[66:67]
	v_pk_mul_f32 v[66:67], v[24:25], s[20:21] op_sel_hi:[1,0]
	v_pk_fma_f32 v[8:9], v[26:27], s[8:9], v[8:9] op_sel:[0,0,1] op_sel_hi:[1,0,0] neg_lo:[0,0,1] neg_hi:[0,0,1]
	v_pk_fma_f32 v[68:69], v[20:21], s[18:19], v[66:67] op_sel:[0,0,1] op_sel_hi:[1,0,0]
	v_pk_fma_f32 v[66:67], v[20:21], s[18:19], v[66:67] op_sel:[0,0,1] op_sel_hi:[1,0,0] neg_lo:[0,0,1] neg_hi:[0,0,1]
	v_mov_b32_e32 v70, v68
	v_mov_b32_e32 v71, v67
	v_pk_add_f32 v[74:75], v[160:161], v[70:71]
	v_pk_mul_f32 v[70:71], v[28:29], s[54:55] op_sel_hi:[1,0]
	v_pk_mul_f32 v[96:97], v[194:195], s[40:41] op_sel_hi:[1,0]
	v_pk_fma_f32 v[72:73], v[26:27], s[28:29], v[70:71] op_sel:[0,0,1] op_sel_hi:[1,0,0]
	v_pk_fma_f32 v[70:71], v[26:27], s[28:29], v[70:71] op_sel:[0,0,1] op_sel_hi:[1,0,0] neg_lo:[0,0,1] neg_hi:[0,0,1]
	v_mov_b32_e32 v76, v72
	v_mov_b32_e32 v77, v71
	v_pk_add_f32 v[78:79], v[76:77], v[74:75]
	v_pk_mul_f32 v[74:75], v[194:195], s[46:47] op_sel_hi:[1,0]
	v_mov_b32_e32 v10, v94
	v_pk_fma_f32 v[76:77], v[30:31], s[0:1], v[74:75] op_sel:[0,0,1] op_sel_hi:[1,0,0]
	v_pk_fma_f32 v[74:75], v[30:31], s[0:1], v[74:75] op_sel:[0,0,1] op_sel_hi:[1,0,0] neg_lo:[0,0,1] neg_hi:[0,0,1]
	v_mov_b32_e32 v80, v76
	v_mov_b32_e32 v81, v75
	v_pk_add_f32 v[82:83], v[80:81], v[78:79]
	v_pk_mul_f32 v[78:79], v[182:183], s[48:49] op_sel_hi:[1,0]
	v_mov_b32_e32 v11, v9
	v_pk_fma_f32 v[80:81], v[32:33], s[8:9], v[78:79] op_sel:[0,0,1] op_sel_hi:[1,0,0]
	v_pk_fma_f32 v[78:79], v[32:33], s[8:9], v[78:79] op_sel:[0,0,1] op_sel_hi:[1,0,0] neg_lo:[0,0,1] neg_hi:[0,0,1]
	v_mov_b32_e32 v84, v80
	v_mov_b32_e32 v85, v79
	v_pk_add_f32 v[84:85], v[84:85], v[82:83]
	v_pk_mul_f32 v[82:83], v[226:227], s[36:37] op_sel_hi:[1,0]
	v_pk_fma_f32 v[148:149], v[30:31], s[14:15], v[96:97] op_sel:[0,0,1] op_sel_hi:[1,0,0]
	v_pk_fma_f32 v[120:121], v[222:223], s[34:35], v[82:83] op_sel:[0,0,1] op_sel_hi:[1,0,0]
	v_pk_fma_f32 v[82:83], v[222:223], s[34:35], v[82:83] op_sel:[0,0,1] op_sel_hi:[1,0,0] neg_lo:[0,0,1] neg_hi:[0,0,1]
	v_mov_b32_e32 v86, v120
	v_mov_b32_e32 v87, v83
	v_pk_add_f32 v[86:87], v[86:87], v[84:85]
	v_pk_fma_f32 v[84:85], v[228:229], s[14:15], v[88:89] op_sel:[0,0,1] op_sel_hi:[1,0,0]
	v_mov_b32_e32 v89, v123
	v_mov_b32_e32 v88, v84
	v_pk_add_f32 v[90:91], v[88:89], v[86:87]
	v_pk_mul_f32 v[86:87], v[172:173], s[26:27] op_sel_hi:[1,0]
	v_pk_fma_f32 v[96:97], v[30:31], s[14:15], v[96:97] op_sel:[0,0,1] op_sel_hi:[1,0,0] neg_lo:[0,0,1] neg_hi:[0,0,1]
	v_pk_fma_f32 v[88:89], v[232:233], s[16:17], v[86:87] op_sel:[0,0,1] op_sel_hi:[1,0,0]
	v_pk_fma_f32 v[86:87], v[232:233], s[16:17], v[86:87] op_sel:[0,0,1] op_sel_hi:[1,0,0] neg_lo:[0,0,1] neg_hi:[0,0,1]
	v_mov_b32_e32 v92, v88
	v_mov_b32_e32 v93, v87
	v_pk_add_f32 v[138:139], v[92:93], v[90:91]
	v_pk_mul_f32 v[90:91], v[38:39], s[24:25] op_sel_hi:[1,0]
	v_pk_mul_f32 v[150:151], v[182:183], s[56:57] op_sel_hi:[1,0]
	v_pk_fma_f32 v[92:93], v[36:37], s[22:23], v[90:91] op_sel:[0,0,1] op_sel_hi:[1,0,0]
	v_pk_fma_f32 v[90:91], v[36:37], s[22:23], v[90:91] op_sel:[0,0,1] op_sel_hi:[1,0,0] neg_lo:[0,0,1] neg_hi:[0,0,1]
	v_mov_b32_e32 v192, v92
	v_mov_b32_e32 v193, v91
	v_pk_add_f32 v[138:139], v[192:193], v[138:139]
	ds_write2_b64 v234, v[136:137], v[138:139] offset0:4 offset1:5
	v_pk_mul_f32 v[136:137], v[24:25], s[24:25] op_sel_hi:[1,0]
	v_mov_b32_e32 v9, v95
	v_pk_fma_f32 v[138:139], v[20:21], s[22:23], v[136:137] op_sel:[0,0,1] op_sel_hi:[1,0,0]
	v_pk_fma_f32 v[136:137], v[20:21], s[22:23], v[136:137] op_sel:[0,0,1] op_sel_hi:[1,0,0] neg_lo:[0,0,1] neg_hi:[0,0,1]
	v_mov_b32_e32 v192, v138
	v_mov_b32_e32 v193, v137
	v_pk_add_f32 v[192:193], v[160:161], v[192:193]
	v_mov_b32_e32 v137, v139
	v_pk_add_f32 v[192:193], v[236:237], v[192:193]
	v_pk_mul_f32 v[236:237], v[194:195], s[26:27] op_sel_hi:[1,0]
	v_mov_b32_e32 v103, v101
	v_pk_fma_f32 v[104:105], v[30:31], s[16:17], v[236:237] op_sel:[0,0,1] op_sel_hi:[1,0,0]
	v_pk_fma_f32 v[106:107], v[30:31], s[16:17], v[236:237] op_sel:[0,0,1] op_sel_hi:[1,0,0] neg_lo:[0,0,1] neg_hi:[0,0,1]
	v_mov_b32_e32 v236, v104
	v_mov_b32_e32 v237, v107
	v_pk_add_f32 v[192:193], v[236:237], v[192:193]
	v_pk_mul_f32 v[236:237], v[182:183], s[30:31] op_sel_hi:[1,0]
	v_pk_fma_f32 v[56:57], v[32:33], s[22:23], v[150:151] op_sel:[0,0,1] op_sel_hi:[1,0,0]
	v_pk_fma_f32 v[108:109], v[32:33], s[28:29], v[236:237] op_sel:[0,0,1] op_sel_hi:[1,0,0]
	v_pk_fma_f32 v[110:111], v[32:33], s[28:29], v[236:237] op_sel:[0,0,1] op_sel_hi:[1,0,0] neg_lo:[0,0,1] neg_hi:[0,0,1]
	v_mov_b32_e32 v236, v108
	v_mov_b32_e32 v237, v111
	v_pk_add_f32 v[192:193], v[236:237], v[192:193]
	v_pk_mul_f32 v[236:237], v[226:227], s[52:53] op_sel_hi:[1,0]
	v_pk_fma_f32 v[150:151], v[32:33], s[22:23], v[150:151] op_sel:[0,0,1] op_sel_hi:[1,0,0] neg_lo:[0,0,1] neg_hi:[0,0,1]
	v_pk_fma_f32 v[112:113], v[222:223], s[14:15], v[236:237] op_sel:[0,0,1] op_sel_hi:[1,0,0]
	v_pk_fma_f32 v[114:115], v[222:223], s[14:15], v[236:237] op_sel:[0,0,1] op_sel_hi:[1,0,0] neg_lo:[0,0,1] neg_hi:[0,0,1]
	v_mov_b32_e32 v236, v112
	v_mov_b32_e32 v237, v115
	v_pk_add_f32 v[192:193], v[236:237], v[192:193]
	v_pk_mul_f32 v[236:237], v[230:231], s[38:39] op_sel_hi:[1,0]
	v_pk_mul_f32 v[58:59], v[226:227], s[26:27] op_sel_hi:[1,0]
	v_pk_fma_f32 v[116:117], v[228:229], s[0:1], v[236:237] op_sel:[0,0,1] op_sel_hi:[1,0,0]
	v_pk_fma_f32 v[118:119], v[228:229], s[0:1], v[236:237] op_sel:[0,0,1] op_sel_hi:[1,0,0] neg_lo:[0,0,1] neg_hi:[0,0,1]
	v_mov_b32_e32 v236, v116
	v_mov_b32_e32 v237, v119
	v_pk_add_f32 v[192:193], v[236:237], v[192:193]
	v_pk_mul_f32 v[236:237], v[172:173], s[36:37] op_sel_hi:[1,0]
	v_mov_b32_e32 v107, v105
	v_pk_fma_f32 v[124:125], v[232:233], s[34:35], v[236:237] op_sel:[0,0,1] op_sel_hi:[1,0,0]
	v_pk_fma_f32 v[126:127], v[232:233], s[34:35], v[236:237] op_sel:[0,0,1] op_sel_hi:[1,0,0] neg_lo:[0,0,1] neg_hi:[0,0,1]
	v_mov_b32_e32 v236, v124
	v_mov_b32_e32 v237, v127
	v_pk_add_f32 v[192:193], v[236:237], v[192:193]
	v_pk_mul_f32 v[236:237], v[38:39], s[42:43] op_sel_hi:[1,0]
	v_pk_fma_f32 v[140:141], v[222:223], s[16:17], v[58:59] op_sel:[0,0,1] op_sel_hi:[1,0,0]
	v_pk_fma_f32 v[0:1], v[36:37], s[8:9], v[236:237] op_sel:[0,0,1] op_sel_hi:[1,0,0]
	v_pk_fma_f32 v[2:3], v[36:37], s[8:9], v[236:237] op_sel:[0,0,1] op_sel_hi:[1,0,0] neg_lo:[0,0,1] neg_hi:[0,0,1]
	v_mov_b32_e32 v236, v0
	v_mov_b32_e32 v237, v3
	v_pk_add_f32 v[192:193], v[236:237], v[192:193]
	v_pk_mul_f32 v[236:237], v[24:25], s[30:31] op_sel_hi:[1,0]
	v_pk_fma_f32 v[58:59], v[222:223], s[16:17], v[58:59] op_sel:[0,0,1] op_sel_hi:[1,0,0] neg_lo:[0,0,1] neg_hi:[0,0,1]
	v_pk_fma_f32 v[4:5], v[20:21], s[28:29], v[236:237] op_sel:[0,0,1] op_sel_hi:[1,0,0]
	v_pk_fma_f32 v[6:7], v[20:21], s[28:29], v[236:237] op_sel:[0,0,1] op_sel_hi:[1,0,0] neg_lo:[0,0,1] neg_hi:[0,0,1]
	v_mov_b32_e32 v236, v4
	v_mov_b32_e32 v237, v7
	;; [unrolled: 1-line block ×3, first 2 shown]
	v_pk_add_f32 v[236:237], v[160:161], v[236:237]
	v_pk_add_f32 v[4:5], v[160:161], v[6:7]
	;; [unrolled: 1-line block ×4, first 2 shown]
	v_mov_b32_e32 v236, v148
	v_mov_b32_e32 v237, v97
	v_pk_add_f32 v[4:5], v[8:9], v[4:5]
	v_mov_b32_e32 v97, v149
	v_pk_add_f32 v[6:7], v[102:103], v[6:7]
	v_pk_add_f32 v[10:11], v[236:237], v[10:11]
	v_mov_b32_e32 v236, v56
	v_mov_b32_e32 v237, v151
	v_pk_mul_f32 v[142:143], v[230:231], s[36:37] op_sel_hi:[1,0]
	v_pk_add_f32 v[4:5], v[96:97], v[4:5]
	v_mov_b32_e32 v151, v57
	v_pk_add_f32 v[6:7], v[106:107], v[6:7]
	v_mov_b32_e32 v111, v109
	v_pk_add_f32 v[10:11], v[236:237], v[10:11]
	v_mov_b32_e32 v236, v140
	v_mov_b32_e32 v237, v59
	v_pk_fma_f32 v[144:145], v[228:229], s[34:35], v[142:143] op_sel:[0,0,1] op_sel_hi:[1,0,0]
	v_pk_fma_f32 v[142:143], v[228:229], s[34:35], v[142:143] op_sel:[0,0,1] op_sel_hi:[1,0,0] neg_lo:[0,0,1] neg_hi:[0,0,1]
	v_pk_mul_f32 v[146:147], v[172:173], s[46:47] op_sel_hi:[1,0]
	v_pk_add_f32 v[4:5], v[150:151], v[4:5]
	v_mov_b32_e32 v59, v141
	v_pk_add_f32 v[6:7], v[110:111], v[6:7]
	v_mov_b32_e32 v115, v113
	v_pk_add_f32 v[10:11], v[236:237], v[10:11]
	v_mov_b32_e32 v236, v144
	v_mov_b32_e32 v237, v143
	v_pk_fma_f32 v[152:153], v[232:233], s[0:1], v[146:147] op_sel:[0,0,1] op_sel_hi:[1,0,0]
	v_pk_fma_f32 v[146:147], v[232:233], s[0:1], v[146:147] op_sel:[0,0,1] op_sel_hi:[1,0,0] neg_lo:[0,0,1] neg_hi:[0,0,1]
	;; [unrolled: 10-line block ×3, first 2 shown]
	v_pk_add_f32 v[4:5], v[142:143], v[4:5]
	v_mov_b32_e32 v147, v153
	v_pk_add_f32 v[6:7], v[118:119], v[6:7]
	v_mov_b32_e32 v127, v125
	;; [unrolled: 2-line block ×5, first 2 shown]
	v_pk_add_f32 v[4:5], v[154:155], v[4:5]
	v_pk_add_f32 v[0:1], v[2:3], v[6:7]
	v_mov_b32_e32 v67, v69
	v_mov_b32_e32 v41, v45
	ds_write2_b64 v234, v[4:5], v[0:1] offset0:10 offset1:11
	v_mov_b32_e32 v71, v73
	v_pk_add_f32 v[0:1], v[160:161], v[66:67]
	v_mov_b32_e32 v49, v51
	v_pk_add_f32 v[2:3], v[160:161], v[40:41]
	v_pk_add_f32 v[0:1], v[70:71], v[0:1]
	v_mov_b32_e32 v75, v77
	v_pk_add_f32 v[2:3], v[48:49], v[2:3]
	v_mov_b32_e32 v55, v53
	;; [unrolled: 2-line block ×12, first 2 shown]
	v_pk_add_f32 v[0:1], v[90:91], v[0:1]
	v_pk_add_f32 v[2:3], v[22:23], v[2:3]
	v_mov_b32_e32 v167, v185
	ds_write2_b64 v234, v[0:1], v[2:3] offset0:12 offset1:13
	v_mov_b32_e32 v17, v19
	v_pk_add_f32 v[0:1], v[160:161], v[166:167]
	v_mov_b32_e32 v197, v177
	v_pk_add_f32 v[0:1], v[16:17], v[0:1]
	;; [unrolled: 2-line block ×5, first 2 shown]
	v_accvgpr_read_b32 v2, a50
	v_pk_add_f32 v[0:1], v[206:207], v[0:1]
	v_mov_b32_e32 v99, v205
	v_accvgpr_read_b32 v3, a51
	v_accvgpr_read_b32 v4, a52
	;; [unrolled: 1-line block ×3, first 2 shown]
	v_pk_add_f32 v[0:1], v[98:99], v[0:1]
	v_mov_b32_e32 v92, v2
	v_mov_b32_e32 v93, v2
	;; [unrolled: 1-line block ×4, first 2 shown]
	v_accvgpr_write_b32 a232, v4
	v_accvgpr_write_b32 a233, v4
	v_mov_b32_e32 v4, v5
	v_accvgpr_write_b32 a53, v5
	v_accvgpr_write_b32 a52, v4
	;; [unrolled: 1-line block ×4, first 2 shown]
	v_pk_add_f32 v[0:1], v[252:253], v[0:1]
	v_accvgpr_read_b32 v3, a46
	v_accvgpr_read_b32 v255, a45
	;; [unrolled: 1-line block ×3, first 2 shown]
	v_accvgpr_write_b32 a231, v3
	v_accvgpr_read_b32 v252, a42
	v_mov_b32_e32 v236, v60
	v_accvgpr_write_b32 a230, v2
	v_mov_b32_e32 v3, v252
	v_pk_add_f32 v[10:11], v[236:237], v[10:11]
	v_mov_b32_e32 v251, v211
	v_mov_b32_e32 v2, v252
	v_accvgpr_write_b32 a223, v3
	ds_write2_b64 v234, v[192:193], v[10:11] offset0:6 offset1:7
	v_pk_mul_f32 v[10:11], v[24:25], s[36:37] op_sel_hi:[1,0]
	v_mov_b32_e32 v249, v215
	v_accvgpr_write_b32 a222, v2
	v_pk_add_f32 v[2:3], v[160:161], v[250:251]
	v_pk_fma_f32 v[24:25], v[20:21], s[34:35], v[10:11] op_sel:[0,0,1] op_sel_hi:[1,0,0]
	v_pk_fma_f32 v[10:11], v[20:21], s[34:35], v[10:11] op_sel:[0,0,1] op_sel_hi:[1,0,0] neg_lo:[0,0,1] neg_hi:[0,0,1]
	v_pk_mul_f32 v[20:21], v[28:29], s[44:45] op_sel_hi:[1,0]
	v_pk_add_f32 v[2:3], v[248:249], v[2:3]
	v_mov_b32_e32 v209, v221
	v_pk_fma_f32 v[28:29], v[26:27], s[16:17], v[20:21] op_sel:[0,0,1] op_sel_hi:[1,0,0]
	v_pk_fma_f32 v[20:21], v[26:27], s[16:17], v[20:21] op_sel:[0,0,1] op_sel_hi:[1,0,0] neg_lo:[0,0,1] neg_hi:[0,0,1]
	v_mov_b32_e32 v26, v24
	v_mov_b32_e32 v27, v11
	v_pk_add_f32 v[2:3], v[208:209], v[2:3]
	v_mov_b32_e32 v247, v225
	v_pk_add_f32 v[26:27], v[160:161], v[26:27]
	v_mov_b32_e32 v62, v28
	v_mov_b32_e32 v63, v21
	v_pk_add_f32 v[2:3], v[246:247], v[2:3]
	v_mov_b32_e32 v213, v199
	v_pk_add_f32 v[26:27], v[62:63], v[26:27]
	v_pk_mul_f32 v[62:63], v[194:195], s[30:31] op_sel_hi:[1,0]
	v_pk_add_f32 v[2:3], v[212:213], v[2:3]
	v_mov_b32_e32 v13, v189
	v_pk_fma_f32 v[192:193], v[30:31], s[28:29], v[62:63] op_sel:[0,0,1] op_sel_hi:[1,0,0]
	v_pk_fma_f32 v[30:31], v[30:31], s[28:29], v[62:63] op_sel:[0,0,1] op_sel_hi:[1,0,0] neg_lo:[0,0,1] neg_hi:[0,0,1]
	v_pk_add_f32 v[2:3], v[12:13], v[2:3]
	v_mov_b32_e32 v217, v187
	v_mov_b32_e32 v62, v192
	v_mov_b32_e32 v63, v31
	v_pk_add_f32 v[2:3], v[216:217], v[2:3]
	v_mov_b32_e32 v219, v181
	v_accvgpr_read_b32 v249, a73
	v_pk_add_f32 v[26:27], v[62:63], v[26:27]
	v_pk_mul_f32 v[62:63], v[182:183], s[46:47] op_sel_hi:[1,0]
	v_pk_add_f32 v[2:3], v[218:219], v[2:3]
	v_accvgpr_read_b32 v246, a70
	v_pk_fma_f32 v[182:183], v[32:33], s[0:1], v[62:63] op_sel:[0,0,1] op_sel_hi:[1,0,0]
	v_pk_fma_f32 v[32:33], v[32:33], s[0:1], v[62:63] op_sel:[0,0,1] op_sel_hi:[1,0,0] neg_lo:[0,0,1] neg_hi:[0,0,1]
	ds_write2_b64 v234, v[0:1], v[2:3] offset0:14 offset1:15
	v_accvgpr_read_b32 v203, a195
	v_mov_b32_e32 v3, v246
	v_mov_b32_e32 v62, v182
	;; [unrolled: 1-line block ×3, first 2 shown]
	v_pk_add_f32 v[0:1], v[160:161], v[202:203]
	v_accvgpr_read_b32 v201, a191
	v_mov_b32_e32 v2, v246
	v_accvgpr_write_b32 a191, v3
	v_pk_add_f32 v[26:27], v[62:63], v[26:27]
	v_pk_mul_f32 v[62:63], v[226:227], s[24:25] op_sel_hi:[1,0]
	v_accvgpr_write_b32 a190, v2
	v_pk_add_f32 v[0:1], v[200:201], v[0:1]
	v_accvgpr_read_b32 v3, a86
	v_accvgpr_read_b32 v203, a77
	v_pk_fma_f32 v[194:195], v[222:223], s[22:23], v[62:63] op_sel:[0,0,1] op_sel_hi:[1,0,0]
	v_pk_fma_f32 v[62:63], v[222:223], s[22:23], v[62:63] op_sel:[0,0,1] op_sel_hi:[1,0,0] neg_lo:[0,0,1] neg_hi:[0,0,1]
	v_accvgpr_read_b32 v2, a86
	v_accvgpr_write_b32 a199, v3
	v_accvgpr_read_b32 v200, a74
	v_mov_b32_e32 v222, v194
	v_mov_b32_e32 v223, v63
	v_accvgpr_read_b32 v243, a197
	v_accvgpr_write_b32 a198, v2
	v_mov_b32_e32 v3, v200
	v_pk_add_f32 v[26:27], v[222:223], v[26:27]
	v_pk_mul_f32 v[222:223], v[230:231], s[42:43] op_sel_hi:[1,0]
	v_pk_add_f32 v[0:1], v[242:243], v[0:1]
	v_accvgpr_read_b32 v241, a201
	v_mov_b32_e32 v2, v200
	v_accvgpr_write_b32 a201, v3
	v_pk_fma_f32 v[226:227], v[228:229], s[8:9], v[222:223] op_sel:[0,0,1] op_sel_hi:[1,0,0]
	v_pk_fma_f32 v[222:223], v[228:229], s[8:9], v[222:223] op_sel:[0,0,1] op_sel_hi:[1,0,0] neg_lo:[0,0,1] neg_hi:[0,0,1]
	v_mov_b32_e32 v11, v25
	v_accvgpr_read_b32 v5, a146
	v_accvgpr_write_b32 a200, v2
	v_pk_add_f32 v[0:1], v[240:241], v[0:1]
	v_accvgpr_read_b32 v3, a90
	v_accvgpr_read_b32 v243, a81
	v_mov_b32_e32 v228, v226
	v_mov_b32_e32 v229, v223
	v_pk_mul_f32 v[172:173], v[172:173], s[20:21] op_sel_hi:[1,0]
	v_mov_b32_e32 v21, v29
	v_pk_add_f32 v[10:11], v[160:161], v[10:11]
	v_accvgpr_read_b32 v4, a146
	v_accvgpr_write_b32 a247, v5
	v_accvgpr_read_b32 v2, a90
	v_accvgpr_write_b32 a207, v3
	v_accvgpr_read_b32 v240, a78
	v_pk_add_f32 v[26:27], v[228:229], v[26:27]
	v_pk_fma_f32 v[228:229], v[232:233], s[18:19], v[172:173] op_sel:[0,0,1] op_sel_hi:[1,0,0]
	v_pk_fma_f32 v[172:173], v[232:233], s[18:19], v[172:173] op_sel:[0,0,1] op_sel_hi:[1,0,0] neg_lo:[0,0,1] neg_hi:[0,0,1]
	v_pk_add_f32 v[10:11], v[20:21], v[10:11]
	v_mov_b32_e32 v31, v193
	v_accvgpr_write_b32 a246, v4
	v_accvgpr_read_b32 v5, a150
	v_accvgpr_write_b32 a206, v2
	v_mov_b32_e32 v3, v240
	v_mov_b32_e32 v230, v228
	;; [unrolled: 1-line block ×3, first 2 shown]
	v_pk_mul_f32 v[38:39], v[38:39], s[52:53] op_sel_hi:[1,0]
	v_pk_add_f32 v[10:11], v[30:31], v[10:11]
	v_mov_b32_e32 v33, v183
	v_accvgpr_read_b32 v4, a150
	v_accvgpr_write_b32 a249, v5
	v_accvgpr_read_b32 v189, a209
	v_mov_b32_e32 v2, v240
	v_accvgpr_write_b32 a209, v3
	v_pk_add_f32 v[26:27], v[230:231], v[26:27]
	v_pk_fma_f32 v[230:231], v[36:37], s[14:15], v[38:39] op_sel:[0,0,1] op_sel_hi:[1,0,0]
	v_pk_fma_f32 v[36:37], v[36:37], s[14:15], v[38:39] op_sel:[0,0,1] op_sel_hi:[1,0,0] neg_lo:[0,0,1] neg_hi:[0,0,1]
	v_pk_add_f32 v[10:11], v[32:33], v[10:11]
	v_mov_b32_e32 v63, v195
	v_accvgpr_write_b32 a248, v4
	v_accvgpr_read_b32 v5, a158
	v_accvgpr_read_b32 v211, a61
	;; [unrolled: 1-line block ×3, first 2 shown]
	v_accvgpr_write_b32 a208, v2
	v_accvgpr_read_b32 v3, a94
	v_mov_b32_e32 v38, v230
	v_mov_b32_e32 v39, v37
	v_pk_add_f32 v[10:11], v[62:63], v[10:11]
	v_mov_b32_e32 v223, v227
	v_accvgpr_read_b32 v54, a142
	v_accvgpr_mov_b32 a146, a147
	v_accvgpr_read_b32 v4, a158
	v_accvgpr_write_b32 a251, v5
	v_accvgpr_read_b32 v208, a58
	v_pk_add_f32 v[0:1], v[198:199], v[0:1]
	v_accvgpr_read_b32 v2, a94
	v_accvgpr_write_b32 a215, v3
	v_pk_add_f32 v[26:27], v[38:39], v[26:27]
	v_pk_add_f32 v[10:11], v[222:223], v[10:11]
	v_mov_b32_e32 v173, v229
	v_accvgpr_read_b32 v74, a122
	v_accvgpr_read_b32 v42, a170
	;; [unrolled: 1-line block ×19, first 2 shown]
	v_accvgpr_mov_b32 a148, a149
	v_accvgpr_mov_b32 a144, a146
	;; [unrolled: 1-line block ×3, first 2 shown]
	v_accvgpr_write_b32 a250, v4
	v_accvgpr_mov_b32 a158, a159
	v_mov_b32_e32 v5, v208
	v_accvgpr_read_b32 v219, a69
	v_accvgpr_read_b32 v215, a65
	v_pk_add_f32 v[0:1], v[188:189], v[0:1]
	v_accvgpr_read_b32 v187, a187
	v_accvgpr_write_b32 a214, v2
	v_accvgpr_read_b32 v3, a82
	v_pk_add_f32 v[10:11], v[172:173], v[10:11]
	v_mov_b32_e32 v37, v231
	v_accvgpr_read_b32 v75, a123
	v_accvgpr_read_b32 v76, a124
	;; [unrolled: 1-line block ×42, first 2 shown]
	v_accvgpr_mov_b32 a145, a147
	v_accvgpr_mov_b32 a146, a148
	;; [unrolled: 1-line block ×11, first 2 shown]
	v_accvgpr_read_b32 v210, a60
	v_accvgpr_read_b32 v209, a59
	v_mov_b32_e32 v4, v208
	v_accvgpr_write_b32 a189, v5
	v_accvgpr_read_b32 v218, a68
	v_accvgpr_read_b32 v217, a67
	;; [unrolled: 1-line block ×12, first 2 shown]
	v_pk_add_f32 v[0:1], v[186:187], v[0:1]
	v_accvgpr_read_b32 v181, a107
	v_accvgpr_read_b32 v2, a82
	v_accvgpr_write_b32 a217, v3
	v_pk_add_f32 v[10:11], v[36:37], v[10:11]
	v_mov_b32_e32 v182, v74
	v_mov_b32_e32 v183, v74
	;; [unrolled: 1-line block ×67, first 2 shown]
	v_accvgpr_read_b32 v118, a106
	v_accvgpr_read_b32 v119, a106
	v_mov_b32_e32 v206, v136
	v_mov_b32_e32 v207, v136
	;; [unrolled: 1-line block ×6, first 2 shown]
	v_accvgpr_mov_b32 a46, a47
	v_accvgpr_mov_b32 a228, a48
	;; [unrolled: 1-line block ×4, first 2 shown]
	v_mov_b32_e32 v252, v253
	v_accvgpr_write_b32 a220, v254
	v_accvgpr_write_b32 a221, v254
	v_mov_b32_e32 v254, v255
	v_accvgpr_read_b32 v149, a175
	v_mov_b32_e32 v120, v150
	v_mov_b32_e32 v121, v150
	;; [unrolled: 1-line block ×9, first 2 shown]
	v_accvgpr_mov_b32 a149, a151
	v_accvgpr_mov_b32 a150, a152
	;; [unrolled: 1-line block ×6, first 2 shown]
	v_accvgpr_write_b32 a108, v122
	v_accvgpr_write_b32 a109, v122
	;; [unrolled: 1-line block ×5, first 2 shown]
	v_mov_b32_e32 v208, v209
	v_accvgpr_write_b32 a192, v210
	v_accvgpr_write_b32 a193, v210
	v_mov_b32_e32 v210, v211
	v_mov_b32_e32 v220, v216
	;; [unrolled: 1-line block ×14, first 2 shown]
	v_accvgpr_write_b32 a194, v248
	v_accvgpr_write_b32 a195, v248
	v_mov_b32_e32 v248, v249
	v_accvgpr_mov_b32 a86, a87
	v_accvgpr_mov_b32 a196, a88
	;; [unrolled: 1-line block ×4, first 2 shown]
	v_mov_b32_e32 v200, v201
	v_accvgpr_write_b32 a202, v202
	v_accvgpr_write_b32 a203, v202
	v_mov_b32_e32 v202, v203
	v_accvgpr_mov_b32 a90, a91
	v_accvgpr_mov_b32 a204, a92
	;; [unrolled: 1-line block ×4, first 2 shown]
	v_mov_b32_e32 v240, v241
	v_accvgpr_write_b32 a210, v242
	v_accvgpr_write_b32 a211, v242
	v_mov_b32_e32 v242, v243
	v_accvgpr_mov_b32 a94, a95
	v_accvgpr_mov_b32 a212, a96
	;; [unrolled: 1-line block ×4, first 2 shown]
	v_accvgpr_write_b32 a216, v2
	v_accvgpr_mov_b32 a82, a83
	v_pk_add_f32 v[0:1], v[180:181], v[0:1]
	v_accvgpr_mov_b32 a218, a84
	v_accvgpr_mov_b32 a219, a84
	;; [unrolled: 1-line block ×3, first 2 shown]
	ds_write2_b64 v234, v[26:27], v[10:11] offset0:8 offset1:9
	ds_write_b64 v234, v[0:1] offset:128
	s_and_saveexec_b64 s[60:61], s[2:3]
	s_cbranch_execz .LBB0_13
; %bb.12:
	v_pk_add_f32 v[0:1], v[130:131], v[128:129]
	v_accvgpr_read_b32 v10, a182
	v_pk_add_f32 v[0:1], v[132:133], v[0:1]
	v_accvgpr_read_b32 v11, a183
	;; [unrolled: 2-line block ×3, first 2 shown]
	v_accvgpr_read_b32 v13, a185
	v_pk_add_f32 v[0:1], v[10:11], v[0:1]
	v_accvgpr_read_b32 v14, a224
	v_pk_add_f32 v[0:1], v[12:13], v[0:1]
	v_accvgpr_read_b32 v15, a225
	v_accvgpr_read_b32 v16, a226
	v_accvgpr_read_b32 v17, a227
	v_pk_add_f32 v[0:1], v[14:15], v[0:1]
	v_accvgpr_read_b32 v46, a234
	v_pk_add_f32 v[0:1], v[16:17], v[0:1]
	v_accvgpr_read_b32 v47, a235
	v_accvgpr_read_b32 v48, a236
	;; [unrolled: 6-line block ×4, first 2 shown]
	v_accvgpr_read_b32 v20, a244
	v_accvgpr_read_b32 v21, a245
	v_pk_add_f32 v[0:1], v[18:19], v[0:1]
	v_lshlrev_b32_e32 v84, 3, v2
	v_pk_add_f32 v[0:1], v[20:21], v[0:1]
	v_accvgpr_read_b32 v2, a128
	v_pk_add_f32 v[0:1], v[156:157], v[0:1]
	v_accvgpr_read_b32 v3, a129
	v_pk_add_f32 v[0:1], v[158:159], v[0:1]
	v_pk_add_f32 v[34:35], v[130:131], v[2:3] neg_lo:[0,1] neg_hi:[0,1]
	v_accvgpr_write_b32 a180, v220
	v_pk_add_f32 v[0:1], v[2:3], v[0:1]
	v_accvgpr_write_b32 a181, v221
	v_pk_add_f32 v[220:221], v[2:3], v[130:131]
	v_pk_mul_f32 v[2:3], v[34:35], s[26:27] op_sel_hi:[1,0]
	v_pk_add_f32 v[32:33], v[132:133], v[158:159] neg_lo:[0,1] neg_hi:[0,1]
	v_accvgpr_write_b32 a62, v212
	v_pk_fma_f32 v[4:5], v[220:221], s[16:17], v[2:3] op_sel:[0,0,1] op_sel_hi:[1,0,0]
	v_pk_add_f32 v[30:31], v[158:159], v[132:133]
	v_accvgpr_write_b32 a63, v213
	v_accvgpr_write_b32 a64, v214
	;; [unrolled: 1-line block ×3, first 2 shown]
	v_pk_add_f32 v[214:215], v[14:15], v[52:53] neg_lo:[0,1] neg_hi:[0,1]
	v_pk_add_f32 v[212:213], v[52:53], v[14:15]
	v_pk_fma_f32 v[14:15], v[220:221], s[16:17], v[2:3] op_sel:[0,0,1] op_sel_hi:[1,0,0] neg_lo:[0,0,1] neg_hi:[0,0,1]
	v_mov_b32_e32 v2, v4
	v_mov_b32_e32 v85, v5
	v_pk_mul_f32 v[4:5], v[32:33], s[38:39] op_sel_hi:[1,0]
	v_pk_add_f32 v[24:25], v[10:11], v[20:21] neg_lo:[0,1] neg_hi:[0,1]
	v_pk_add_f32 v[22:23], v[20:21], v[10:11]
	v_mov_b32_e32 v3, v15
	v_pk_fma_f32 v[10:11], v[30:31], s[0:1], v[4:5] op_sel:[0,0,1] op_sel_hi:[1,0,0]
	v_pk_fma_f32 v[132:133], v[30:31], s[0:1], v[4:5] op_sel:[0,0,1] op_sel_hi:[1,0,0] neg_lo:[0,0,1] neg_hi:[0,0,1]
	v_pk_add_f32 v[28:29], v[134:135], v[156:157] neg_lo:[0,1] neg_hi:[0,1]
	v_pk_add_f32 v[2:3], v[128:129], v[2:3]
	v_mov_b32_e32 v4, v10
	v_mov_b32_e32 v5, v133
	v_pk_add_f32 v[26:27], v[156:157], v[134:135]
	v_pk_add_f32 v[2:3], v[4:5], v[2:3]
	v_pk_mul_f32 v[4:5], v[28:29], s[48:49] op_sel_hi:[1,0]
	v_accvgpr_write_b32 a98, v136
	v_accvgpr_write_b32 a237, v11
	v_pk_fma_f32 v[10:11], v[26:27], s[8:9], v[4:5] op_sel:[0,0,1] op_sel_hi:[1,0,0]
	v_accvgpr_write_b32 a99, v137
	v_accvgpr_write_b32 a100, v138
	v_accvgpr_write_b32 a101, v139
	v_pk_fma_f32 v[136:137], v[26:27], s[8:9], v[4:5] op_sel:[0,0,1] op_sel_hi:[1,0,0] neg_lo:[0,0,1] neg_hi:[0,0,1]
	v_mov_b32_e32 v4, v10
	v_mov_b32_e32 v5, v137
	v_pk_add_f32 v[2:3], v[4:5], v[2:3]
	v_pk_mul_f32 v[4:5], v[24:25], s[40:41] op_sel_hi:[1,0]
	v_accvgpr_write_b32 a225, v141
	v_accvgpr_write_b32 a239, v11
	v_pk_fma_f32 v[10:11], v[22:23], s[14:15], v[4:5] op_sel:[0,0,1] op_sel_hi:[1,0,0]
	v_accvgpr_write_b32 a224, v140
	v_pk_fma_f32 v[140:141], v[22:23], s[14:15], v[4:5] op_sel:[0,0,1] op_sel_hi:[1,0,0] neg_lo:[0,0,1] neg_hi:[0,0,1]
	v_pk_add_f32 v[20:21], v[12:13], v[18:19] neg_lo:[0,1] neg_hi:[0,1]
	v_accvgpr_write_b32 a66, v216
	v_mov_b32_e32 v4, v10
	v_mov_b32_e32 v5, v141
	v_accvgpr_write_b32 a67, v217
	v_accvgpr_write_b32 a68, v218
	;; [unrolled: 1-line block ×3, first 2 shown]
	v_pk_add_f32 v[216:217], v[18:19], v[12:13]
	v_pk_add_f32 v[2:3], v[4:5], v[2:3]
	v_pk_mul_f32 v[4:5], v[20:21], s[20:21] op_sel_hi:[1,0]
	v_accvgpr_write_b32 a227, v145
	v_accvgpr_write_b32 a241, v11
	v_pk_fma_f32 v[10:11], v[216:217], s[18:19], v[4:5] op_sel:[0,0,1] op_sel_hi:[1,0,0]
	v_accvgpr_write_b32 a226, v144
	v_pk_fma_f32 v[144:145], v[216:217], s[18:19], v[4:5] op_sel:[0,0,1] op_sel_hi:[1,0,0] neg_lo:[0,0,1] neg_hi:[0,0,1]
	v_mov_b32_e32 v4, v10
	v_mov_b32_e32 v5, v145
	v_pk_add_f32 v[2:3], v[4:5], v[2:3]
	v_pk_mul_f32 v[4:5], v[214:215], s[24:25] op_sel_hi:[1,0]
	v_accvgpr_write_b32 a175, v151
	v_accvgpr_write_b32 a58, v208
	;; [unrolled: 1-line block ×3, first 2 shown]
	v_pk_fma_f32 v[10:11], v[212:213], s[22:23], v[4:5] op_sel:[0,0,1] op_sel_hi:[1,0,0]
	v_accvgpr_write_b32 a174, v150
	v_accvgpr_write_b32 a173, v149
	;; [unrolled: 1-line block ×3, first 2 shown]
	v_pk_fma_f32 v[148:149], v[212:213], s[22:23], v[4:5] op_sel:[0,0,1] op_sel_hi:[1,0,0] neg_lo:[0,0,1] neg_hi:[0,0,1]
	v_accvgpr_write_b32 a59, v209
	v_accvgpr_write_b32 a60, v210
	;; [unrolled: 1-line block ×3, first 2 shown]
	v_pk_add_f32 v[210:211], v[16:17], v[50:51] neg_lo:[0,1] neg_hi:[0,1]
	v_mov_b32_e32 v4, v10
	v_mov_b32_e32 v5, v149
	v_pk_add_f32 v[208:209], v[50:51], v[16:17]
	v_pk_add_f32 v[2:3], v[4:5], v[2:3]
	v_pk_mul_f32 v[4:5], v[210:211], s[30:31] op_sel_hi:[1,0]
	v_accvgpr_write_b32 a179, v155
	v_accvgpr_write_b32 a42, v252
	;; [unrolled: 1-line block ×3, first 2 shown]
	v_pk_fma_f32 v[10:11], v[208:209], s[28:29], v[4:5] op_sel:[0,0,1] op_sel_hi:[1,0,0]
	v_accvgpr_write_b32 a178, v154
	v_accvgpr_write_b32 a177, v153
	;; [unrolled: 1-line block ×3, first 2 shown]
	v_pk_fma_f32 v[152:153], v[208:209], s[28:29], v[4:5] op_sel:[0,0,1] op_sel_hi:[1,0,0] neg_lo:[0,0,1] neg_hi:[0,0,1]
	v_accvgpr_write_b32 a43, v253
	v_accvgpr_write_b32 a44, v254
	;; [unrolled: 1-line block ×3, first 2 shown]
	v_pk_add_f32 v[252:253], v[46:47], v[48:49] neg_lo:[0,1] neg_hi:[0,1]
	v_mov_b32_e32 v4, v10
	v_mov_b32_e32 v5, v153
	v_pk_add_f32 v[254:255], v[48:49], v[46:47]
	v_pk_add_f32 v[2:3], v[4:5], v[2:3]
	v_pk_mul_f32 v[4:5], v[252:253], s[36:37] op_sel_hi:[1,0]
	v_accvgpr_write_b32 a121, v11
	v_pk_fma_f32 v[10:11], v[254:255], s[34:35], v[4:5] op_sel:[0,0,1] op_sel_hi:[1,0,0]
	v_pk_fma_f32 v[156:157], v[254:255], s[34:35], v[4:5] op_sel:[0,0,1] op_sel_hi:[1,0,0] neg_lo:[0,0,1] neg_hi:[0,0,1]
	v_mov_b32_e32 v4, v10
	v_mov_b32_e32 v5, v157
	v_pk_add_f32 v[2:3], v[4:5], v[2:3]
	ds_write2_b64 v84, v[0:1], v[2:3] offset1:1
	v_pk_mul_f32 v[0:1], v[34:35], s[38:39] op_sel_hi:[1,0]
	v_accvgpr_write_b32 a74, v200
	v_pk_fma_f32 v[2:3], v[220:221], s[0:1], v[0:1] op_sel:[0,0,1] op_sel_hi:[1,0,0]
	v_pk_fma_f32 v[18:19], v[220:221], s[0:1], v[0:1] op_sel:[0,0,1] op_sel_hi:[1,0,0] neg_lo:[0,0,1] neg_hi:[0,0,1]
	v_mov_b32_e32 v0, v2
	v_mov_b32_e32 v15, v3
	v_pk_mul_f32 v[2:3], v[32:33], s[40:41] op_sel_hi:[1,0]
	v_mov_b32_e32 v1, v19
	v_pk_fma_f32 v[4:5], v[30:31], s[14:15], v[2:3] op_sel:[0,0,1] op_sel_hi:[1,0,0]
	v_pk_fma_f32 v[180:181], v[30:31], s[14:15], v[2:3] op_sel:[0,0,1] op_sel_hi:[1,0,0] neg_lo:[0,0,1] neg_hi:[0,0,1]
	v_pk_add_f32 v[0:1], v[128:129], v[0:1]
	v_mov_b32_e32 v2, v4
	v_mov_b32_e32 v3, v181
	v_pk_add_f32 v[0:1], v[2:3], v[0:1]
	v_pk_mul_f32 v[2:3], v[28:29], s[24:25] op_sel_hi:[1,0]
	v_mov_b32_e32 v133, v5
	v_pk_fma_f32 v[4:5], v[26:27], s[22:23], v[2:3] op_sel:[0,0,1] op_sel_hi:[1,0,0]
	v_accvgpr_write_b32 a75, v201
	v_accvgpr_write_b32 a76, v202
	;; [unrolled: 1-line block ×3, first 2 shown]
	v_pk_fma_f32 v[200:201], v[26:27], s[22:23], v[2:3] op_sel:[0,0,1] op_sel_hi:[1,0,0] neg_lo:[0,0,1] neg_hi:[0,0,1]
	v_mov_b32_e32 v2, v4
	v_mov_b32_e32 v3, v201
	v_pk_add_f32 v[0:1], v[2:3], v[0:1]
	v_pk_mul_f32 v[2:3], v[24:25], s[36:37] op_sel_hi:[1,0]
	v_mov_b32_e32 v137, v5
	v_pk_fma_f32 v[4:5], v[22:23], s[34:35], v[2:3] op_sel:[0,0,1] op_sel_hi:[1,0,0]
	v_pk_fma_f32 v[218:219], v[22:23], s[34:35], v[2:3] op_sel:[0,0,1] op_sel_hi:[1,0,0] neg_lo:[0,0,1] neg_hi:[0,0,1]
	v_mov_b32_e32 v2, v4
	v_mov_b32_e32 v3, v219
	v_pk_add_f32 v[0:1], v[2:3], v[0:1]
	v_pk_mul_f32 v[2:3], v[20:21], s[54:55] op_sel_hi:[1,0]
	v_accvgpr_write_b32 a78, v240
	v_mov_b32_e32 v141, v5
	v_pk_fma_f32 v[4:5], v[216:217], s[28:29], v[2:3] op_sel:[0,0,1] op_sel_hi:[1,0,0]
	v_accvgpr_write_b32 a79, v241
	v_accvgpr_write_b32 a80, v242
	;; [unrolled: 1-line block ×3, first 2 shown]
	v_pk_fma_f32 v[242:243], v[216:217], s[28:29], v[2:3] op_sel:[0,0,1] op_sel_hi:[1,0,0] neg_lo:[0,0,1] neg_hi:[0,0,1]
	v_mov_b32_e32 v2, v4
	v_mov_b32_e32 v3, v243
	v_pk_add_f32 v[0:1], v[2:3], v[0:1]
	v_pk_mul_f32 v[2:3], v[214:215], s[50:51] op_sel_hi:[1,0]
	v_accvgpr_write_b32 a70, v246
	v_mov_b32_e32 v145, v5
	v_pk_fma_f32 v[4:5], v[212:213], s[18:19], v[2:3] op_sel:[0,0,1] op_sel_hi:[1,0,0]
	v_accvgpr_write_b32 a71, v247
	v_accvgpr_write_b32 a72, v248
	;; [unrolled: 1-line block ×3, first 2 shown]
	v_pk_fma_f32 v[248:249], v[212:213], s[18:19], v[2:3] op_sel:[0,0,1] op_sel_hi:[1,0,0] neg_lo:[0,0,1] neg_hi:[0,0,1]
	v_mov_b32_e32 v2, v4
	v_mov_b32_e32 v3, v249
	v_pk_add_f32 v[0:1], v[2:3], v[0:1]
	v_pk_mul_f32 v[2:3], v[210:211], s[42:43] op_sel_hi:[1,0]
	v_accvgpr_write_b32 a186, v250
	v_mov_b32_e32 v149, v5
	v_pk_fma_f32 v[4:5], v[208:209], s[8:9], v[2:3] op_sel:[0,0,1] op_sel_hi:[1,0,0]
	v_accvgpr_write_b32 a187, v251
	v_pk_fma_f32 v[250:251], v[208:209], s[8:9], v[2:3] op_sel:[0,0,1] op_sel_hi:[1,0,0] neg_lo:[0,0,1] neg_hi:[0,0,1]
	v_mov_b32_e32 v2, v4
	v_mov_b32_e32 v3, v251
	v_pk_add_f32 v[0:1], v[2:3], v[0:1]
	v_pk_mul_f32 v[2:3], v[252:253], s[44:45] op_sel_hi:[1,0]
	v_mov_b32_e32 v153, v5
	v_pk_fma_f32 v[4:5], v[254:255], s[16:17], v[2:3] op_sel:[0,0,1] op_sel_hi:[1,0,0]
	v_pk_fma_f32 v[12:13], v[254:255], s[16:17], v[2:3] op_sel:[0,0,1] op_sel_hi:[1,0,0] neg_lo:[0,0,1] neg_hi:[0,0,1]
	v_mov_b32_e32 v2, v4
	v_mov_b32_e32 v3, v13
	v_pk_add_f32 v[0:1], v[2:3], v[0:1]
	v_pk_mul_f32 v[2:3], v[34:35], s[48:49] op_sel_hi:[1,0]
	v_mov_b32_e32 v157, v5
	v_pk_fma_f32 v[4:5], v[220:221], s[8:9], v[2:3] op_sel:[0,0,1] op_sel_hi:[1,0,0]
	v_pk_fma_f32 v[16:17], v[220:221], s[8:9], v[2:3] op_sel:[0,0,1] op_sel_hi:[1,0,0] neg_lo:[0,0,1] neg_hi:[0,0,1]
	v_mov_b32_e32 v2, v4
	v_mov_b32_e32 v19, v5
	v_pk_mul_f32 v[4:5], v[32:33], s[24:25] op_sel_hi:[1,0]
	v_accvgpr_write_b32 a127, v11
	v_mov_b32_e32 v3, v17
	v_pk_fma_f32 v[10:11], v[30:31], s[22:23], v[4:5] op_sel:[0,0,1] op_sel_hi:[1,0,0]
	v_pk_fma_f32 v[160:161], v[30:31], s[22:23], v[4:5] op_sel:[0,0,1] op_sel_hi:[1,0,0] neg_lo:[0,0,1] neg_hi:[0,0,1]
	v_pk_add_f32 v[2:3], v[128:129], v[2:3]
	v_mov_b32_e32 v4, v10
	v_mov_b32_e32 v5, v161
	v_pk_add_f32 v[2:3], v[4:5], v[2:3]
	v_pk_mul_f32 v[4:5], v[28:29], s[58:59] op_sel_hi:[1,0]
	v_mov_b32_e32 v181, v11
	v_pk_fma_f32 v[10:11], v[26:27], s[34:35], v[4:5] op_sel:[0,0,1] op_sel_hi:[1,0,0]
	v_pk_fma_f32 v[202:203], v[26:27], s[34:35], v[4:5] op_sel:[0,0,1] op_sel_hi:[1,0,0] neg_lo:[0,0,1] neg_hi:[0,0,1]
	v_mov_b32_e32 v4, v10
	v_mov_b32_e32 v5, v203
	v_pk_add_f32 v[2:3], v[4:5], v[2:3]
	v_pk_mul_f32 v[4:5], v[24:25], s[50:51] op_sel_hi:[1,0]
	v_mov_b32_e32 v201, v11
	v_pk_fma_f32 v[10:11], v[22:23], s[18:19], v[4:5] op_sel:[0,0,1] op_sel_hi:[1,0,0]
	v_pk_fma_f32 v[246:247], v[22:23], s[18:19], v[4:5] op_sel:[0,0,1] op_sel_hi:[1,0,0] neg_lo:[0,0,1] neg_hi:[0,0,1]
	;; [unrolled: 7-line block ×5, first 2 shown]
	v_mov_b32_e32 v4, v10
	v_mov_b32_e32 v5, v135
	v_pk_add_f32 v[2:3], v[4:5], v[2:3]
	v_pk_mul_f32 v[4:5], v[252:253], s[30:31] op_sel_hi:[1,0]
	v_accvgpr_write_b32 a135, v89
	v_mov_b32_e32 v251, v11
	v_pk_fma_f32 v[10:11], v[254:255], s[28:29], v[4:5] op_sel:[0,0,1] op_sel_hi:[1,0,0]
	v_accvgpr_write_b32 a134, v88
	v_accvgpr_write_b32 a133, v87
	;; [unrolled: 1-line block ×3, first 2 shown]
	v_pk_fma_f32 v[86:87], v[254:255], s[28:29], v[4:5] op_sel:[0,0,1] op_sel_hi:[1,0,0] neg_lo:[0,0,1] neg_hi:[0,0,1]
	v_mov_b32_e32 v4, v10
	v_mov_b32_e32 v5, v87
	v_pk_add_f32 v[2:3], v[4:5], v[2:3]
	ds_write2_b64 v84, v[0:1], v[2:3] offset0:2 offset1:3
	v_pk_mul_f32 v[0:1], v[34:35], s[40:41] op_sel_hi:[1,0]
	v_accvgpr_write_b32 a163, v41
	v_pk_fma_f32 v[2:3], v[220:221], s[14:15], v[0:1] op_sel:[0,0,1] op_sel_hi:[1,0,0]
	v_accvgpr_write_b32 a162, v40
	v_accvgpr_write_b32 a161, v39
	;; [unrolled: 1-line block ×3, first 2 shown]
	v_pk_fma_f32 v[38:39], v[220:221], s[14:15], v[0:1] op_sel:[0,0,1] op_sel_hi:[1,0,0] neg_lo:[0,0,1] neg_hi:[0,0,1]
	v_mov_b32_e32 v0, v2
	v_mov_b32_e32 v17, v3
	v_pk_mul_f32 v[2:3], v[32:33], s[36:37] op_sel_hi:[1,0]
	v_mov_b32_e32 v1, v39
	v_pk_fma_f32 v[4:5], v[30:31], s[34:35], v[2:3] op_sel:[0,0,1] op_sel_hi:[1,0,0]
	v_pk_fma_f32 v[36:37], v[30:31], s[34:35], v[2:3] op_sel:[0,0,1] op_sel_hi:[1,0,0] neg_lo:[0,0,1] neg_hi:[0,0,1]
	v_pk_add_f32 v[0:1], v[128:129], v[0:1]
	v_mov_b32_e32 v2, v4
	v_mov_b32_e32 v3, v37
	v_pk_add_f32 v[0:1], v[2:3], v[0:1]
	v_pk_mul_f32 v[2:3], v[28:29], s[50:51] op_sel_hi:[1,0]
	v_accvgpr_write_b32 a171, v45
	v_mov_b32_e32 v87, v5
	v_pk_fma_f32 v[4:5], v[26:27], s[18:19], v[2:3] op_sel:[0,0,1] op_sel_hi:[1,0,0]
	v_accvgpr_write_b32 a170, v44
	v_accvgpr_write_b32 a169, v43
	v_accvgpr_write_b32 a168, v42
	v_pk_fma_f32 v[42:43], v[26:27], s[18:19], v[2:3] op_sel:[0,0,1] op_sel_hi:[1,0,0] neg_lo:[0,0,1] neg_hi:[0,0,1]
	v_mov_b32_e32 v2, v4
	v_mov_b32_e32 v3, v43
	v_pk_add_f32 v[0:1], v[2:3], v[0:1]
	v_pk_mul_f32 v[2:3], v[24:25], s[44:45] op_sel_hi:[1,0]
	v_mov_b32_e32 v131, v5
	v_pk_fma_f32 v[4:5], v[22:23], s[16:17], v[2:3] op_sel:[0,0,1] op_sel_hi:[1,0,0]
	v_pk_fma_f32 v[46:47], v[22:23], s[16:17], v[2:3] op_sel:[0,0,1] op_sel_hi:[1,0,0] neg_lo:[0,0,1] neg_hi:[0,0,1]
	v_mov_b32_e32 v2, v4
	v_mov_b32_e32 v3, v47
	v_pk_add_f32 v[0:1], v[2:3], v[0:1]
	v_pk_mul_f32 v[2:3], v[20:21], s[48:49] op_sel_hi:[1,0]
	v_mov_b32_e32 v135, v5
	v_pk_fma_f32 v[4:5], v[216:217], s[8:9], v[2:3] op_sel:[0,0,1] op_sel_hi:[1,0,0]
	v_pk_fma_f32 v[50:51], v[216:217], s[8:9], v[2:3] op_sel:[0,0,1] op_sel_hi:[1,0,0] neg_lo:[0,0,1] neg_hi:[0,0,1]
	v_mov_b32_e32 v2, v4
	v_mov_b32_e32 v3, v51
	v_pk_add_f32 v[0:1], v[2:3], v[0:1]
	v_pk_mul_f32 v[2:3], v[214:215], s[30:31] op_sel_hi:[1,0]
	v_accvgpr_write_b32 a143, v57
	v_mov_b32_e32 v161, v5
	v_pk_fma_f32 v[4:5], v[212:213], s[28:29], v[2:3] op_sel:[0,0,1] op_sel_hi:[1,0,0]
	v_accvgpr_write_b32 a142, v56
	v_accvgpr_write_b32 a141, v55
	;; [unrolled: 1-line block ×3, first 2 shown]
	v_pk_fma_f32 v[54:55], v[212:213], s[28:29], v[2:3] op_sel:[0,0,1] op_sel_hi:[1,0,0] neg_lo:[0,0,1] neg_hi:[0,0,1]
	v_mov_b32_e32 v2, v4
	v_mov_b32_e32 v3, v55
	v_pk_add_f32 v[0:1], v[2:3], v[0:1]
	v_pk_mul_f32 v[2:3], v[210:211], s[56:57] op_sel_hi:[1,0]
	v_accvgpr_write_b32 a113, v69
	v_mov_b32_e32 v187, v5
	v_pk_fma_f32 v[4:5], v[208:209], s[22:23], v[2:3] op_sel:[0,0,1] op_sel_hi:[1,0,0]
	v_accvgpr_write_b32 a112, v68
	v_accvgpr_write_b32 a111, v67
	;; [unrolled: 1-line block ×3, first 2 shown]
	v_pk_fma_f32 v[66:67], v[208:209], s[22:23], v[2:3] op_sel:[0,0,1] op_sel_hi:[1,0,0] neg_lo:[0,0,1] neg_hi:[0,0,1]
	v_mov_b32_e32 v2, v4
	v_mov_b32_e32 v3, v67
	v_pk_add_f32 v[0:1], v[2:3], v[0:1]
	v_pk_mul_f32 v[2:3], v[252:253], s[46:47] op_sel_hi:[1,0]
	v_mov_b32_e32 v203, v5
	v_pk_fma_f32 v[240:241], v[254:255], s[0:1], v[2:3] op_sel:[0,0,1] op_sel_hi:[1,0,0]
	v_pk_fma_f32 v[40:41], v[254:255], s[0:1], v[2:3] op_sel:[0,0,1] op_sel_hi:[1,0,0] neg_lo:[0,0,1] neg_hi:[0,0,1]
	v_mov_b32_e32 v2, v240
	v_mov_b32_e32 v3, v41
	v_pk_add_f32 v[0:1], v[2:3], v[0:1]
	v_pk_mul_f32 v[2:3], v[34:35], s[20:21] op_sel_hi:[1,0]
	v_pk_mul_f32 v[4:5], v[32:33], s[54:55] op_sel_hi:[1,0]
	v_pk_fma_f32 v[198:199], v[220:221], s[18:19], v[2:3] op_sel:[0,0,1] op_sel_hi:[1,0,0]
	v_pk_fma_f32 v[44:45], v[220:221], s[18:19], v[2:3] op_sel:[0,0,1] op_sel_hi:[1,0,0] neg_lo:[0,0,1] neg_hi:[0,0,1]
	v_mov_b32_e32 v2, v198
	v_mov_b32_e32 v3, v45
	v_pk_fma_f32 v[188:189], v[30:31], s[28:29], v[4:5] op_sel:[0,0,1] op_sel_hi:[1,0,0]
	v_pk_fma_f32 v[48:49], v[30:31], s[28:29], v[4:5] op_sel:[0,0,1] op_sel_hi:[1,0,0] neg_lo:[0,0,1] neg_hi:[0,0,1]
	v_pk_add_f32 v[2:3], v[128:129], v[2:3]
	v_mov_b32_e32 v4, v188
	v_mov_b32_e32 v5, v49
	v_pk_add_f32 v[2:3], v[4:5], v[2:3]
	v_pk_mul_f32 v[4:5], v[28:29], s[46:47] op_sel_hi:[1,0]
	v_accvgpr_write_b32 a139, v65
	v_pk_fma_f32 v[158:159], v[26:27], s[0:1], v[4:5] op_sel:[0,0,1] op_sel_hi:[1,0,0]
	v_pk_fma_f32 v[52:53], v[26:27], s[0:1], v[4:5] op_sel:[0,0,1] op_sel_hi:[1,0,0] neg_lo:[0,0,1] neg_hi:[0,0,1]
	v_mov_b32_e32 v4, v158
	v_mov_b32_e32 v5, v53
	v_pk_add_f32 v[2:3], v[4:5], v[2:3]
	v_pk_mul_f32 v[4:5], v[24:25], s[48:49] op_sel_hi:[1,0]
	v_mov_b32_e32 v13, v235
	v_pk_fma_f32 v[234:235], v[22:23], s[8:9], v[4:5] op_sel:[0,0,1] op_sel_hi:[1,0,0]
	v_accvgpr_write_b32 a138, v64
	v_accvgpr_write_b32 a137, v63
	v_accvgpr_write_b32 a136, v62
	v_pk_fma_f32 v[64:65], v[22:23], s[8:9], v[4:5] op_sel:[0,0,1] op_sel_hi:[1,0,0] neg_lo:[0,0,1] neg_hi:[0,0,1]
	v_mov_b32_e32 v4, v234
	v_mov_b32_e32 v5, v65
	v_pk_add_f32 v[2:3], v[4:5], v[2:3]
	v_pk_mul_f32 v[4:5], v[20:21], s[36:37] op_sel_hi:[1,0]
	v_accvgpr_write_b32 a117, v73
	v_pk_fma_f32 v[68:69], v[216:217], s[34:35], v[4:5] op_sel:[0,0,1] op_sel_hi:[1,0,0]
	v_accvgpr_write_b32 a116, v72
	v_accvgpr_write_b32 a115, v71
	v_accvgpr_write_b32 a114, v70
	v_pk_fma_f32 v[70:71], v[216:217], s[34:35], v[4:5] op_sel:[0,0,1] op_sel_hi:[1,0,0] neg_lo:[0,0,1] neg_hi:[0,0,1]
	v_mov_b32_e32 v4, v68
	v_mov_b32_e32 v5, v71
	v_pk_add_f32 v[2:3], v[4:5], v[2:3]
	v_pk_mul_f32 v[4:5], v[214:215], s[52:53] op_sel_hi:[1,0]
	v_accvgpr_write_b32 a125, v77
	;; [unrolled: 10-line block ×3, first 2 shown]
	v_pk_fma_f32 v[76:77], v[208:209], s[16:17], v[4:5] op_sel:[0,0,1] op_sel_hi:[1,0,0]
	v_pk_fma_f32 v[78:79], v[208:209], s[16:17], v[4:5] op_sel:[0,0,1] op_sel_hi:[1,0,0] neg_lo:[0,0,1] neg_hi:[0,0,1]
	v_mov_b32_e32 v4, v76
	v_mov_b32_e32 v5, v79
	v_pk_add_f32 v[2:3], v[4:5], v[2:3]
	v_pk_mul_f32 v[4:5], v[252:253], s[24:25] op_sel_hi:[1,0]
	v_accvgpr_write_b32 a154, v8
	v_pk_fma_f32 v[80:81], v[254:255], s[22:23], v[4:5] op_sel:[0,0,1] op_sel_hi:[1,0,0]
	v_pk_fma_f32 v[82:83], v[254:255], s[22:23], v[4:5] op_sel:[0,0,1] op_sel_hi:[1,0,0] neg_lo:[0,0,1] neg_hi:[0,0,1]
	v_mov_b32_e32 v4, v80
	v_mov_b32_e32 v5, v83
	v_pk_add_f32 v[2:3], v[4:5], v[2:3]
	ds_write2_b64 v84, v[0:1], v[2:3] offset0:4 offset1:5
	v_pk_mul_f32 v[0:1], v[34:35], s[24:25] op_sel_hi:[1,0]
	v_accvgpr_write_b32 a153, v7
	v_pk_fma_f32 v[2:3], v[220:221], s[22:23], v[0:1] op_sel:[0,0,1] op_sel_hi:[1,0,0]
	v_pk_fma_f32 v[0:1], v[220:221], s[22:23], v[0:1] op_sel:[0,0,1] op_sel_hi:[1,0,0] neg_lo:[0,0,1] neg_hi:[0,0,1]
	v_accvgpr_write_b32 a152, v6
	v_pk_mul_f32 v[6:7], v[32:33], s[50:51] op_sel_hi:[1,0]
	v_mov_b32_e32 v4, v2
	v_mov_b32_e32 v5, v1
	v_pk_fma_f32 v[8:9], v[30:31], s[18:19], v[6:7] op_sel:[0,0,1] op_sel_hi:[1,0,0]
	v_pk_fma_f32 v[6:7], v[30:31], s[18:19], v[6:7] op_sel:[0,0,1] op_sel_hi:[1,0,0] neg_lo:[0,0,1] neg_hi:[0,0,1]
	v_accvgpr_write_b32 a5, v11
	v_pk_add_f32 v[4:5], v[128:129], v[4:5]
	v_mov_b32_e32 v10, v8
	v_mov_b32_e32 v11, v7
	v_pk_add_f32 v[4:5], v[10:11], v[4:5]
	v_pk_mul_f32 v[10:11], v[28:29], s[26:27] op_sel_hi:[1,0]
	v_accvgpr_write_b32 a167, v61
	v_pk_fma_f32 v[56:57], v[26:27], s[16:17], v[10:11] op_sel:[0,0,1] op_sel_hi:[1,0,0]
	v_pk_fma_f32 v[10:11], v[26:27], s[16:17], v[10:11] op_sel:[0,0,1] op_sel_hi:[1,0,0] neg_lo:[0,0,1] neg_hi:[0,0,1]
	v_accvgpr_write_b32 a166, v60
	v_accvgpr_write_b32 a165, v59
	;; [unrolled: 1-line block ×3, first 2 shown]
	v_mov_b32_e32 v58, v56
	v_mov_b32_e32 v59, v11
	v_pk_add_f32 v[4:5], v[58:59], v[4:5]
	v_pk_mul_f32 v[58:59], v[24:25], s[30:31] op_sel_hi:[1,0]
	v_accvgpr_write_b32 a131, v103
	v_pk_fma_f32 v[60:61], v[22:23], s[28:29], v[58:59] op_sel:[0,0,1] op_sel_hi:[1,0,0]
	v_pk_fma_f32 v[58:59], v[22:23], s[28:29], v[58:59] op_sel:[0,0,1] op_sel_hi:[1,0,0] neg_lo:[0,0,1] neg_hi:[0,0,1]
	v_mov_b32_e32 v62, v60
	v_mov_b32_e32 v63, v59
	v_pk_add_f32 v[4:5], v[62:63], v[4:5]
	v_pk_mul_f32 v[62:63], v[20:21], s[52:53] op_sel_hi:[1,0]
	v_accvgpr_write_b32 a130, v102
	v_pk_fma_f32 v[88:89], v[216:217], s[14:15], v[62:63] op_sel:[0,0,1] op_sel_hi:[1,0,0]
	v_pk_fma_f32 v[62:63], v[216:217], s[14:15], v[62:63] op_sel:[0,0,1] op_sel_hi:[1,0,0] neg_lo:[0,0,1] neg_hi:[0,0,1]
	;; [unrolled: 7-line block ×4, first 2 shown]
	v_mov_b32_e32 v100, v98
	v_mov_b32_e32 v101, v97
	v_pk_add_f32 v[4:5], v[100:101], v[4:5]
	v_pk_mul_f32 v[100:101], v[252:253], s[42:43] op_sel_hi:[1,0]
	v_pk_mul_f32 v[106:107], v[32:33], s[42:43] op_sel_hi:[1,0]
	v_pk_fma_f32 v[102:103], v[254:255], s[8:9], v[100:101] op_sel:[0,0,1] op_sel_hi:[1,0,0]
	v_pk_fma_f32 v[100:101], v[254:255], s[8:9], v[100:101] op_sel:[0,0,1] op_sel_hi:[1,0,0] neg_lo:[0,0,1] neg_hi:[0,0,1]
	v_mov_b32_e32 v104, v102
	v_mov_b32_e32 v105, v101
	v_pk_add_f32 v[4:5], v[104:105], v[4:5]
	v_pk_mul_f32 v[104:105], v[34:35], s[30:31] op_sel_hi:[1,0]
	v_pk_fma_f32 v[116:117], v[30:31], s[8:9], v[106:107] op_sel:[0,0,1] op_sel_hi:[1,0,0]
	v_pk_fma_f32 v[112:113], v[220:221], s[28:29], v[104:105] op_sel:[0,0,1] op_sel_hi:[1,0,0]
	v_pk_fma_f32 v[104:105], v[220:221], s[28:29], v[104:105] op_sel:[0,0,1] op_sel_hi:[1,0,0] neg_lo:[0,0,1] neg_hi:[0,0,1]
	v_mov_b32_e32 v114, v112
	v_mov_b32_e32 v115, v105
	v_pk_fma_f32 v[106:107], v[30:31], s[8:9], v[106:107] op_sel:[0,0,1] op_sel_hi:[1,0,0] neg_lo:[0,0,1] neg_hi:[0,0,1]
	v_accvgpr_write_b32 a106, v118
	v_pk_mul_f32 v[108:109], v[28:29], s[40:41] op_sel_hi:[1,0]
	v_pk_add_f32 v[114:115], v[128:129], v[114:115]
	v_accvgpr_write_b32 a107, v119
	v_mov_b32_e32 v118, v116
	v_mov_b32_e32 v119, v107
	v_pk_add_f32 v[114:115], v[118:119], v[114:115]
	v_pk_fma_f32 v[118:119], v[26:27], s[14:15], v[108:109] op_sel:[0,0,1] op_sel_hi:[1,0,0]
	v_pk_fma_f32 v[108:109], v[26:27], s[14:15], v[108:109] op_sel:[0,0,1] op_sel_hi:[1,0,0] neg_lo:[0,0,1] neg_hi:[0,0,1]
	v_accvgpr_write_b32 a235, v121
	v_pk_mul_f32 v[110:111], v[24:25], s[56:57] op_sel_hi:[1,0]
	v_accvgpr_write_b32 a234, v120
	v_mov_b32_e32 v120, v118
	v_mov_b32_e32 v121, v109
	v_accvgpr_write_b32 a102, v122
	v_pk_add_f32 v[114:115], v[120:121], v[114:115]
	v_pk_fma_f32 v[120:121], v[22:23], s[22:23], v[110:111] op_sel:[0,0,1] op_sel_hi:[1,0,0]
	v_pk_fma_f32 v[110:111], v[22:23], s[22:23], v[110:111] op_sel:[0,0,1] op_sel_hi:[1,0,0] neg_lo:[0,0,1] neg_hi:[0,0,1]
	v_accvgpr_write_b32 a103, v123
	v_accvgpr_write_b32 a104, v124
	;; [unrolled: 1-line block ×3, first 2 shown]
	v_mov_b32_e32 v122, v120
	v_mov_b32_e32 v123, v111
	v_pk_add_f32 v[114:115], v[122:123], v[114:115]
	v_pk_mul_f32 v[122:123], v[20:21], s[26:27] op_sel_hi:[1,0]
	v_accvgpr_write_b32 a182, v224
	v_pk_fma_f32 v[124:125], v[216:217], s[16:17], v[122:123] op_sel:[0,0,1] op_sel_hi:[1,0,0]
	v_pk_fma_f32 v[122:123], v[216:217], s[16:17], v[122:123] op_sel:[0,0,1] op_sel_hi:[1,0,0] neg_lo:[0,0,1] neg_hi:[0,0,1]
	v_mov_b32_e32 v126, v124
	v_mov_b32_e32 v127, v123
	v_pk_add_f32 v[114:115], v[126:127], v[114:115]
	v_pk_mul_f32 v[126:127], v[214:215], s[36:37] op_sel_hi:[1,0]
	v_accvgpr_write_b32 a183, v225
	v_pk_fma_f32 v[138:139], v[212:213], s[34:35], v[126:127] op_sel:[0,0,1] op_sel_hi:[1,0,0]
	v_pk_fma_f32 v[126:127], v[212:213], s[34:35], v[126:127] op_sel:[0,0,1] op_sel_hi:[1,0,0] neg_lo:[0,0,1] neg_hi:[0,0,1]
	;; [unrolled: 7-line block ×3, first 2 shown]
	v_accvgpr_write_b32 a185, v237
	v_mov_b32_e32 v236, v224
	v_mov_b32_e32 v237, v193
	v_pk_add_f32 v[114:115], v[236:237], v[114:115]
	v_pk_mul_f32 v[236:237], v[252:253], s[20:21] op_sel_hi:[1,0]
	v_pk_mul_f32 v[32:33], v[32:33], s[44:45] op_sel_hi:[1,0]
	v_pk_fma_f32 v[150:151], v[254:255], s[18:19], v[236:237] op_sel:[0,0,1] op_sel_hi:[1,0,0]
	v_pk_fma_f32 v[236:237], v[254:255], s[18:19], v[236:237] op_sel:[0,0,1] op_sel_hi:[1,0,0] neg_lo:[0,0,1] neg_hi:[0,0,1]
	v_mov_b32_e32 v154, v150
	v_mov_b32_e32 v155, v237
	v_pk_add_f32 v[114:115], v[154:155], v[114:115]
	ds_write2_b64 v84, v[4:5], v[114:115] offset0:6 offset1:7
	v_pk_mul_f32 v[4:5], v[34:35], s[36:37] op_sel_hi:[1,0]
	v_pk_fma_f32 v[114:115], v[30:31], s[16:17], v[32:33] op_sel:[0,0,1] op_sel_hi:[1,0,0]
	v_pk_fma_f32 v[34:35], v[220:221], s[34:35], v[4:5] op_sel:[0,0,1] op_sel_hi:[1,0,0]
	v_pk_fma_f32 v[4:5], v[220:221], s[34:35], v[4:5] op_sel:[0,0,1] op_sel_hi:[1,0,0] neg_lo:[0,0,1] neg_hi:[0,0,1]
	v_pk_fma_f32 v[30:31], v[30:31], s[16:17], v[32:33] op_sel:[0,0,1] op_sel_hi:[1,0,0] neg_lo:[0,0,1] neg_hi:[0,0,1]
	v_mov_b32_e32 v32, v34
	v_mov_b32_e32 v33, v5
	v_pk_add_f32 v[32:33], v[128:129], v[32:33]
	v_mov_b32_e32 v154, v114
	v_mov_b32_e32 v155, v31
	v_pk_mul_f32 v[28:29], v[28:29], s[30:31] op_sel_hi:[1,0]
	v_pk_add_f32 v[32:33], v[154:155], v[32:33]
	v_pk_fma_f32 v[154:155], v[26:27], s[28:29], v[28:29] op_sel:[0,0,1] op_sel_hi:[1,0,0]
	v_pk_fma_f32 v[26:27], v[26:27], s[28:29], v[28:29] op_sel:[0,0,1] op_sel_hi:[1,0,0] neg_lo:[0,0,1] neg_hi:[0,0,1]
	v_mov_b32_e32 v28, v154
	v_mov_b32_e32 v29, v27
	v_pk_mul_f32 v[24:25], v[24:25], s[46:47] op_sel_hi:[1,0]
	v_pk_add_f32 v[28:29], v[28:29], v[32:33]
	v_pk_fma_f32 v[32:33], v[22:23], s[0:1], v[24:25] op_sel:[0,0,1] op_sel_hi:[1,0,0]
	v_pk_fma_f32 v[22:23], v[22:23], s[0:1], v[24:25] op_sel:[0,0,1] op_sel_hi:[1,0,0] neg_lo:[0,0,1] neg_hi:[0,0,1]
	;; [unrolled: 6-line block ×3, first 2 shown]
	v_mov_b32_e32 v216, v28
	v_mov_b32_e32 v217, v21
	v_pk_mul_f32 v[214:215], v[214:215], s[42:43] op_sel_hi:[1,0]
	v_mov_b32_e32 v5, v35
	v_pk_add_f32 v[24:25], v[216:217], v[24:25]
	v_pk_fma_f32 v[216:217], v[212:213], s[8:9], v[214:215] op_sel:[0,0,1] op_sel_hi:[1,0,0]
	v_pk_fma_f32 v[212:213], v[212:213], s[8:9], v[214:215] op_sel:[0,0,1] op_sel_hi:[1,0,0] neg_lo:[0,0,1] neg_hi:[0,0,1]
	v_mov_b32_e32 v31, v115
	v_pk_add_f32 v[4:5], v[128:129], v[4:5]
	v_mov_b32_e32 v214, v216
	v_mov_b32_e32 v215, v213
	v_pk_mul_f32 v[210:211], v[210:211], s[20:21] op_sel_hi:[1,0]
	v_pk_add_f32 v[4:5], v[30:31], v[4:5]
	v_mov_b32_e32 v27, v155
	v_pk_add_f32 v[24:25], v[214:215], v[24:25]
	v_pk_fma_f32 v[214:215], v[208:209], s[18:19], v[210:211] op_sel:[0,0,1] op_sel_hi:[1,0,0]
	v_pk_fma_f32 v[208:209], v[208:209], s[18:19], v[210:211] op_sel:[0,0,1] op_sel_hi:[1,0,0] neg_lo:[0,0,1] neg_hi:[0,0,1]
	v_pk_add_f32 v[4:5], v[26:27], v[4:5]
	v_mov_b32_e32 v23, v33
	v_mov_b32_e32 v210, v214
	;; [unrolled: 1-line block ×3, first 2 shown]
	v_pk_add_f32 v[4:5], v[22:23], v[4:5]
	v_mov_b32_e32 v21, v29
	v_pk_add_f32 v[24:25], v[210:211], v[24:25]
	v_pk_mul_f32 v[210:211], v[252:253], s[52:53] op_sel_hi:[1,0]
	v_pk_add_f32 v[4:5], v[20:21], v[4:5]
	v_mov_b32_e32 v213, v217
	v_pk_fma_f32 v[220:221], v[254:255], s[14:15], v[210:211] op_sel:[0,0,1] op_sel_hi:[1,0,0]
	v_pk_fma_f32 v[210:211], v[254:255], s[14:15], v[210:211] op_sel:[0,0,1] op_sel_hi:[1,0,0] neg_lo:[0,0,1] neg_hi:[0,0,1]
	v_pk_add_f32 v[4:5], v[212:213], v[4:5]
	v_mov_b32_e32 v209, v215
	v_mov_b32_e32 v252, v220
	;; [unrolled: 1-line block ×3, first 2 shown]
	v_pk_add_f32 v[4:5], v[208:209], v[4:5]
	v_mov_b32_e32 v211, v221
	v_pk_add_f32 v[24:25], v[252:253], v[24:25]
	v_pk_add_f32 v[4:5], v[210:211], v[4:5]
	v_mov_b32_e32 v105, v113
	v_mov_b32_e32 v1, v3
	ds_write2_b64 v84, v[24:25], v[4:5] offset0:8 offset1:9
	v_pk_add_f32 v[4:5], v[128:129], v[104:105]
	v_mov_b32_e32 v107, v117
	v_pk_add_f32 v[0:1], v[128:129], v[0:1]
	v_mov_b32_e32 v7, v9
	;; [unrolled: 2-line block ×14, first 2 shown]
	v_pk_add_f32 v[4:5], v[236:237], v[4:5]
	v_pk_add_f32 v[0:1], v[100:101], v[0:1]
	v_mov_b32_e32 v45, v199
	v_mov_b32_e32 v39, v17
	ds_write2_b64 v84, v[4:5], v[0:1] offset0:10 offset1:11
	v_pk_add_f32 v[0:1], v[128:129], v[44:45]
	v_mov_b32_e32 v49, v189
	v_pk_add_f32 v[2:3], v[128:129], v[38:39]
	v_mov_b32_e32 v37, v87
	;; [unrolled: 2-line block ×14, first 2 shown]
	v_pk_add_f32 v[0:1], v[82:83], v[0:1]
	v_pk_add_f32 v[2:3], v[40:41], v[2:3]
	v_mov_b32_e32 v17, v19
	v_mov_b32_e32 v19, v15
	ds_write2_b64 v84, v[0:1], v[2:3] offset0:12 offset1:13
	v_pk_add_f32 v[0:1], v[128:129], v[16:17]
	v_mov_b32_e32 v161, v181
	v_pk_add_f32 v[2:3], v[128:129], v[18:19]
	v_mov_b32_e32 v181, v133
	;; [unrolled: 2-line block ×12, first 2 shown]
	v_mov_b32_e32 v235, v13
	v_pk_add_f32 v[0:1], v[134:135], v[0:1]
	v_accvgpr_read_b32 v87, a5
	v_pk_add_f32 v[2:3], v[250:251], v[2:3]
	v_mov_b32_e32 v13, v157
	v_pk_add_f32 v[0:1], v[86:87], v[0:1]
	v_pk_add_f32 v[2:3], v[12:13], v[2:3]
	v_mov_b32_e32 v15, v85
	ds_write2_b64 v84, v[0:1], v[2:3] offset0:14 offset1:15
	v_pk_add_f32 v[0:1], v[128:129], v[14:15]
	v_accvgpr_read_b32 v133, a237
	v_pk_add_f32 v[0:1], v[132:133], v[0:1]
	v_accvgpr_read_b32 v137, a239
	;; [unrolled: 2-line block ×6, first 2 shown]
	v_accvgpr_read_b32 v255, a45
	v_accvgpr_read_b32 v215, a65
	;; [unrolled: 1-line block ×29, first 2 shown]
	v_pk_add_f32 v[0:1], v[152:153], v[0:1]
	v_accvgpr_read_b32 v152, a176
	v_accvgpr_read_b32 v157, a127
	;; [unrolled: 1-line block ×76, first 2 shown]
	v_pk_add_f32 v[0:1], v[156:157], v[0:1]
	ds_write_b64 v84, v[0:1] offset:128
.LBB0_13:
	s_or_b64 exec, exec, s[60:61]
	v_accvgpr_read_b32 v186, a0
	v_add_u32_e32 v52, 0x1c00, v186
	s_waitcnt lgkmcnt(0)
	; wave barrier
	s_waitcnt lgkmcnt(0)
	ds_read2_b64 v[16:19], v52 offset0:124 offset1:175
	v_add_u32_e32 v46, 0x2c00, v186
	ds_read2_b64 v[28:31], v46 offset0:122 offset1:173
	v_add_u32_e32 v47, 0x1800, v186
	ds_read2_b64 v[34:37], v47 offset0:150 offset1:201
	s_waitcnt lgkmcnt(2)
	v_pk_mul_f32 v[0:1], v[74:75], v[18:19]
	v_add_u32_e32 v51, 0x2800, v186
	v_pk_fma_f32 v[12:13], v[182:183], v[18:19], v[0:1] op_sel:[0,0,1] op_sel_hi:[1,1,0]
	v_pk_fma_f32 v[18:19], v[182:183], v[18:19], v[0:1] op_sel:[0,0,1] op_sel_hi:[1,1,0] neg_lo:[0,0,1] neg_hi:[0,0,1]
	v_pk_mul_f32 v[0:1], v[42:43], v[16:17]
	v_add_u32_e32 v49, 0x1000, v186
	v_pk_fma_f32 v[14:15], v[172:173], v[16:17], v[0:1] op_sel:[0,0,1] op_sel_hi:[1,1,0]
	v_pk_fma_f32 v[24:25], v[172:173], v[16:17], v[0:1] op_sel:[0,0,1] op_sel_hi:[1,1,0] neg_lo:[0,0,1] neg_hi:[0,0,1]
	s_waitcnt lgkmcnt(1)
	v_pk_mul_f32 v[0:1], v[44:45], v[30:31]
	v_add_u32_e32 v48, 0x2000, v186
	v_pk_fma_f32 v[16:17], v[164:165], v[30:31], v[0:1] op_sel:[0,0,1] op_sel_hi:[1,1,0]
	v_pk_fma_f32 v[26:27], v[164:165], v[30:31], v[0:1] op_sel:[0,0,1] op_sel_hi:[1,1,0] neg_lo:[0,0,1] neg_hi:[0,0,1]
	v_pk_mul_f32 v[0:1], v[40:41], v[28:29]
	ds_read2_b64 v[40:43], v51 offset0:148 offset1:199
	v_pk_fma_f32 v[20:21], v[168:169], v[28:29], v[0:1] op_sel:[0,0,1] op_sel_hi:[1,1,0]
	v_pk_fma_f32 v[28:29], v[168:169], v[28:29], v[0:1] op_sel:[0,0,1] op_sel_hi:[1,1,0] neg_lo:[0,0,1] neg_hi:[0,0,1]
	s_waitcnt lgkmcnt(1)
	v_pk_mul_f32 v[0:1], v[38:39], v[36:37]
	v_add_u32_e32 v50, 0xc00, v186
	v_pk_fma_f32 v[22:23], v[230:231], v[36:37], v[0:1] op_sel:[0,0,1] op_sel_hi:[1,1,0]
	v_pk_fma_f32 v[30:31], v[230:231], v[36:37], v[0:1] op_sel:[0,0,1] op_sel_hi:[1,1,0] neg_lo:[0,0,1] neg_hi:[0,0,1]
	v_pk_mul_f32 v[0:1], v[58:59], v[34:35]
	s_mov_b32 s0, 0x3f5db3d7
	v_pk_fma_f32 v[32:33], v[222:223], v[34:35], v[0:1] op_sel:[0,0,1] op_sel_hi:[1,1,0]
	v_pk_fma_f32 v[36:37], v[222:223], v[34:35], v[0:1] op_sel:[0,0,1] op_sel_hi:[1,1,0] neg_lo:[0,0,1] neg_hi:[0,0,1]
	s_waitcnt lgkmcnt(0)
	v_pk_mul_f32 v[0:1], v[60:61], v[42:43]
	v_add_u32_e32 v53, 0x800, v186
	v_pk_fma_f32 v[34:35], v[194:195], v[42:43], v[0:1] op_sel:[0,0,1] op_sel_hi:[1,1,0]
	v_pk_fma_f32 v[38:39], v[194:195], v[42:43], v[0:1] op_sel:[0,0,1] op_sel_hi:[1,1,0] neg_lo:[0,0,1] neg_hi:[0,0,1]
	v_pk_mul_f32 v[0:1], v[8:9], v[40:41]
	v_mov_b32_e32 v33, v37
	v_pk_fma_f32 v[2:3], v[162:163], v[40:41], v[0:1] op_sel:[0,0,1] op_sel_hi:[1,1,0]
	v_pk_fma_f32 v[0:1], v[162:163], v[40:41], v[0:1] op_sel:[0,0,1] op_sel_hi:[1,1,0] neg_lo:[0,0,1] neg_hi:[0,0,1]
	ds_read2_b64 v[40:43], v47 offset0:48 offset1:99
	v_accvgpr_read_b32 v0, a31
	v_mov_b32_e32 v3, v1
	v_mov_b32_e32 v35, v39
	;; [unrolled: 1-line block ×3, first 2 shown]
	s_waitcnt lgkmcnt(0)
	v_pk_mul_f32 v[4:5], v[6:7], v[42:43]
	v_pk_mul_f32 v[8:9], v[54:55], v[40:41]
	v_pk_fma_f32 v[6:7], v[228:229], v[42:43], v[4:5] op_sel:[0,0,1] op_sel_hi:[1,1,0]
	v_pk_fma_f32 v[4:5], v[228:229], v[42:43], v[4:5] op_sel:[0,0,1] op_sel_hi:[1,1,0] neg_lo:[0,0,1] neg_hi:[0,0,1]
	v_pk_fma_f32 v[10:11], v[174:175], v[40:41], v[8:9] op_sel:[0,0,1] op_sel_hi:[1,1,0]
	v_pk_fma_f32 v[8:9], v[174:175], v[40:41], v[8:9] op_sel:[0,0,1] op_sel_hi:[1,1,0] neg_lo:[0,0,1] neg_hi:[0,0,1]
	ds_read2_b64 v[40:43], v51 offset0:46 offset1:97
	v_mov_b32_e32 v11, v9
	v_mov_b32_e32 v7, v5
	v_pk_add_f32 v[4:5], v[6:7], v[2:3] neg_lo:[0,1] neg_hi:[0,1]
	v_mov_b32_e32 v15, v25
	s_waitcnt lgkmcnt(0)
	v_pk_mul_f32 v[44:45], v[56:57], v[42:43]
	v_pk_mul_f32 v[4:5], v[4:5], s[0:1] op_sel_hi:[1,0]
	v_pk_fma_f32 v[54:55], v[142:143], v[42:43], v[44:45] op_sel:[0,0,1] op_sel_hi:[1,1,0]
	v_pk_fma_f32 v[56:57], v[142:143], v[42:43], v[44:45] op_sel:[0,0,1] op_sel_hi:[1,1,0] neg_lo:[0,0,1] neg_hi:[0,0,1]
	v_pk_mul_f32 v[42:43], v[64:65], v[40:41]
	v_mov_b32_e32 v55, v57
	v_pk_fma_f32 v[58:59], v[184:185], v[40:41], v[42:43] op_sel:[0,0,1] op_sel_hi:[1,1,0]
	v_pk_fma_f32 v[60:61], v[184:185], v[40:41], v[42:43] op_sel:[0,0,1] op_sel_hi:[1,1,0] neg_lo:[0,0,1] neg_hi:[0,0,1]
	ds_read2_b64 v[40:43], v49 offset0:202 offset1:253
	v_mov_b32_e32 v59, v61
	v_pk_add_f32 v[8:9], v[10:11], v[54:55]
	v_mov_b32_e32 v17, v27
	v_mov_b32_e32 v23, v31
	s_waitcnt lgkmcnt(0)
	v_pk_mul_f32 v[44:45], v[62:63], v[42:43]
	v_mov_b32_e32 v21, v29
	v_pk_fma_f32 v[62:63], v[232:233], v[42:43], v[44:45] op_sel:[0,0,1] op_sel_hi:[1,1,0]
	v_pk_fma_f32 v[80:81], v[232:233], v[42:43], v[44:45] op_sel:[0,0,1] op_sel_hi:[1,1,0] neg_lo:[0,0,1] neg_hi:[0,0,1]
	v_pk_mul_f32 v[42:43], v[86:87], v[40:41]
	v_mov_b32_e32 v63, v81
	v_pk_fma_f32 v[82:83], v[166:167], v[40:41], v[42:43] op_sel:[0,0,1] op_sel_hi:[1,1,0]
	v_pk_fma_f32 v[84:85], v[166:167], v[40:41], v[42:43] op_sel:[0,0,1] op_sel_hi:[1,1,0] neg_lo:[0,0,1] neg_hi:[0,0,1]
	ds_read2_b64 v[40:43], v48 offset0:200 offset1:251
	v_mov_b32_e32 v83, v85
	v_pk_add_f32 v[24:25], v[22:23], v[20:21] neg_lo:[0,1] neg_hi:[0,1]
	v_accvgpr_read_b32 v185, a49
	v_pk_mul_f32 v[24:25], v[24:25], s[0:1] op_sel_hi:[1,0]
	s_waitcnt lgkmcnt(0)
	v_pk_mul_f32 v[44:45], v[88:89], v[42:43]
	v_accvgpr_read_b32 v195, a147
	v_pk_fma_f32 v[86:87], v[176:177], v[42:43], v[44:45] op_sel:[0,0,1] op_sel_hi:[1,1,0]
	v_pk_fma_f32 v[88:89], v[176:177], v[42:43], v[44:45] op_sel:[0,0,1] op_sel_hi:[1,1,0] neg_lo:[0,0,1] neg_hi:[0,0,1]
	v_pk_mul_f32 v[42:43], v[102:103], v[40:41]
	v_mov_b32_e32 v87, v89
	v_pk_fma_f32 v[90:91], v[238:239], v[40:41], v[42:43] op_sel:[0,0,1] op_sel_hi:[1,1,0]
	v_pk_fma_f32 v[94:95], v[238:239], v[40:41], v[42:43] op_sel:[0,0,1] op_sel_hi:[1,1,0] neg_lo:[0,0,1] neg_hi:[0,0,1]
	ds_read2_b64 v[40:43], v49 offset0:100 offset1:151
	v_mov_b32_e32 v91, v95
	v_accvgpr_read_b32 v183, a47
	v_accvgpr_read_b32 v182, a46
	;; [unrolled: 1-line block ×3, first 2 shown]
	s_waitcnt lgkmcnt(0)
	v_pk_mul_f32 v[44:45], v[100:101], v[42:43]
	v_accvgpr_read_b32 v222, a230
	v_pk_fma_f32 v[96:97], v[196:197], v[42:43], v[44:45] op_sel:[0,0,1] op_sel_hi:[1,1,0]
	v_pk_fma_f32 v[98:99], v[196:197], v[42:43], v[44:45] op_sel:[0,0,1] op_sel_hi:[1,1,0] neg_lo:[0,0,1] neg_hi:[0,0,1]
	v_pk_mul_f32 v[42:43], v[70:71], v[40:41]
	v_mov_b32_e32 v97, v99
	v_pk_fma_f32 v[100:101], v[190:191], v[40:41], v[42:43] op_sel:[0,0,1] op_sel_hi:[1,1,0]
	v_pk_fma_f32 v[102:103], v[190:191], v[40:41], v[42:43] op_sel:[0,0,1] op_sel_hi:[1,1,0] neg_lo:[0,0,1] neg_hi:[0,0,1]
	ds_read2_b64 v[40:43], v48 offset0:98 offset1:149
	v_mov_b32_e32 v101, v103
	v_accvgpr_read_b32 v191, a53
	v_accvgpr_read_b32 v189, a51
	;; [unrolled: 1-line block ×3, first 2 shown]
	s_waitcnt lgkmcnt(0)
	v_pk_mul_f32 v[44:45], v[72:73], v[42:43]
	v_accvgpr_read_b32 v190, a52
	v_pk_fma_f32 v[104:105], v[244:245], v[42:43], v[44:45] op_sel:[0,0,1] op_sel_hi:[1,1,0]
	v_pk_fma_f32 v[106:107], v[244:245], v[42:43], v[44:45] op_sel:[0,0,1] op_sel_hi:[1,1,0] neg_lo:[0,0,1] neg_hi:[0,0,1]
	v_pk_mul_f32 v[42:43], v[68:69], v[40:41]
	v_mov_b32_e32 v105, v107
	v_pk_fma_f32 v[64:65], v[178:179], v[40:41], v[42:43] op_sel:[0,0,1] op_sel_hi:[1,1,0]
	v_pk_fma_f32 v[44:45], v[178:179], v[40:41], v[42:43] op_sel:[0,0,1] op_sel_hi:[1,1,0] neg_lo:[0,0,1] neg_hi:[0,0,1]
	ds_read_b64 v[40:41], v186 offset:13056
	v_mov_b32_e32 v65, v45
	v_accvgpr_read_b32 v223, a231
	v_accvgpr_read_b32 v184, a48
	s_mov_b32 s24, 0xbf0a6770
	s_waitcnt lgkmcnt(0)
	v_pk_mul_f32 v[42:43], v[76:77], v[40:41]
	s_mov_b32 s14, 0x3f575c64
	v_pk_fma_f32 v[108:109], v[226:227], v[40:41], v[42:43] op_sel:[0,0,1] op_sel_hi:[1,1,0]
	v_pk_fma_f32 v[110:111], v[226:227], v[40:41], v[42:43] op_sel:[0,0,1] op_sel_hi:[1,1,0] neg_lo:[0,0,1] neg_hi:[0,0,1]
	ds_read2_b64 v[40:43], v50 offset0:126 offset1:177
	v_mov_b32_e32 v109, v111
	v_accvgpr_read_b32 v226, a232
	v_accvgpr_read_b32 v227, a233
	s_mov_b32 s38, 0xbf68dda4
	s_waitcnt lgkmcnt(0)
	v_pk_mul_f32 v[66:67], v[66:67], v[42:43]
	s_mov_b32 s8, 0x3ed4b147
	v_pk_fma_f32 v[68:69], v[170:171], v[42:43], v[66:67] op_sel:[0,0,1] op_sel_hi:[1,1,0]
	v_pk_fma_f32 v[42:43], v[170:171], v[42:43], v[66:67] op_sel:[0,0,1] op_sel_hi:[1,1,0] neg_lo:[0,0,1] neg_hi:[0,0,1]
	s_mov_b32 s18, 0xbf7d64f0
	v_mov_b32_e32 v69, v43
	ds_read2_b64 v[42:45], v186 offset1:51
	s_mov_b32 s16, 0xbe11bafb
	s_mov_b32 s22, 0xbf4178ce
	;; [unrolled: 1-line block ×4, first 2 shown]
	s_waitcnt lgkmcnt(0)
	v_pk_add_f32 v[66:67], v[42:43], v[68:69]
	s_mov_b32 s26, 0xbf75a155
	v_pk_add_f32 v[112:113], v[66:67], v[64:65]
	v_pk_add_f32 v[66:67], v[68:69], v[64:65]
	v_pk_add_f32 v[64:65], v[68:69], v[64:65] neg_lo:[0,1] neg_hi:[0,1]
	v_pk_fma_f32 v[42:43], v[66:67], 0.5, v[42:43] op_sel_hi:[1,0,1] neg_lo:[1,0,0] neg_hi:[1,0,0]
	v_pk_mul_f32 v[64:65], v[64:65], s[0:1] op_sel_hi:[1,0]
	s_mov_b32 s40, 0x3e903f40
	v_pk_add_f32 v[114:115], v[42:43], v[64:65] op_sel:[0,1] op_sel_hi:[1,0] neg_lo:[0,1] neg_hi:[0,1]
	v_pk_add_f32 v[42:43], v[42:43], v[64:65] op_sel:[0,1] op_sel_hi:[1,0]
	ds_read2_b64 v[64:67], v53 offset0:152 offset1:203
	ds_read2_b64 v[68:71], v53 offset0:50 offset1:101
	;; [unrolled: 1-line block ×4, first 2 shown]
	v_mov_b32_e32 v117, v43
	v_mov_b32_e32 v43, v115
	s_waitcnt lgkmcnt(0)
	; wave barrier
	s_waitcnt lgkmcnt(0)
	ds_write_b64 v0, v[42:43] offset:272
	v_pk_add_f32 v[42:43], v[100:101], v[104:105]
	v_mov_b32_e32 v116, v114
	v_pk_fma_f32 v[42:43], v[42:43], 0.5, v[44:45] op_sel_hi:[1,0,1] neg_lo:[1,0,0] neg_hi:[1,0,0]
	v_pk_add_f32 v[44:45], v[44:45], v[100:101]
	v_pk_add_f32 v[100:101], v[100:101], v[104:105] neg_lo:[0,1] neg_hi:[0,1]
	ds_write2_b64 v0, v[112:113], v[116:117] offset1:17
	v_pk_mul_f32 v[100:101], v[100:101], s[0:1] op_sel_hi:[1,0]
	v_accvgpr_read_b32 v0, a126
	v_pk_add_f32 v[102:103], v[42:43], v[100:101] op_sel:[0,1] op_sel_hi:[1,0] neg_lo:[0,1] neg_hi:[0,1]
	v_pk_add_f32 v[42:43], v[42:43], v[100:101] op_sel:[0,1] op_sel_hi:[1,0]
	v_pk_add_f32 v[44:45], v[44:45], v[104:105]
	v_mov_b32_e32 v101, v43
	v_mov_b32_e32 v43, v103
	v_mov_b32_e32 v100, v102
	ds_write_b64 v0, v[42:43] offset:272
	v_pk_add_f32 v[42:43], v[76:77], v[96:97]
	ds_write2_b64 v0, v[44:45], v[100:101] offset1:17
	v_pk_add_f32 v[42:43], v[42:43], v[90:91]
	v_pk_add_f32 v[44:45], v[96:97], v[90:91]
	v_pk_add_f32 v[90:91], v[96:97], v[90:91] neg_lo:[0,1] neg_hi:[0,1]
	v_pk_fma_f32 v[44:45], v[44:45], 0.5, v[76:77] op_sel_hi:[1,0,1] neg_lo:[1,0,0] neg_hi:[1,0,0]
	v_pk_mul_f32 v[76:77], v[90:91], s[0:1] op_sel_hi:[1,0]
	v_accvgpr_read_b32 v0, a3
	v_pk_add_f32 v[90:91], v[44:45], v[76:77] op_sel:[0,1] op_sel_hi:[1,0] neg_lo:[0,1] neg_hi:[0,1]
	v_pk_add_f32 v[44:45], v[44:45], v[76:77] op_sel:[0,1] op_sel_hi:[1,0]
	v_mov_b32_e32 v76, v90
	v_mov_b32_e32 v77, v45
	ds_write2_b64 v0, v[42:43], v[76:77] offset1:17
	v_pk_add_f32 v[42:43], v[82:83], v[86:87]
	v_pk_add_f32 v[76:77], v[82:83], v[86:87] neg_lo:[0,1] neg_hi:[0,1]
	v_mov_b32_e32 v45, v91
	v_pk_fma_f32 v[42:43], v[42:43], 0.5, v[78:79] op_sel_hi:[1,0,1] neg_lo:[1,0,0] neg_hi:[1,0,0]
	v_pk_mul_f32 v[76:77], v[76:77], s[0:1] op_sel_hi:[1,0]
	ds_write_b64 v0, v[44:45] offset:272
	v_pk_add_f32 v[44:45], v[78:79], v[82:83]
	v_pk_add_f32 v[78:79], v[42:43], v[76:77] op_sel:[0,1] op_sel_hi:[1,0] neg_lo:[0,1] neg_hi:[0,1]
	v_pk_add_f32 v[42:43], v[42:43], v[76:77] op_sel:[0,1] op_sel_hi:[1,0]
	v_accvgpr_read_b32 v0, a120
	v_mov_b32_e32 v77, v43
	v_mov_b32_e32 v43, v79
	v_pk_add_f32 v[44:45], v[44:45], v[86:87]
	v_mov_b32_e32 v76, v78
	ds_write_b64 v0, v[42:43] offset:272
	v_pk_add_f32 v[42:43], v[72:73], v[62:63]
	ds_write2_b64 v0, v[44:45], v[76:77] offset1:17
	v_pk_add_f32 v[42:43], v[42:43], v[58:59]
	v_pk_add_f32 v[44:45], v[62:63], v[58:59]
	v_pk_add_f32 v[58:59], v[62:63], v[58:59] neg_lo:[0,1] neg_hi:[0,1]
	v_pk_fma_f32 v[44:45], v[44:45], 0.5, v[72:73] op_sel_hi:[1,0,1] neg_lo:[1,0,0] neg_hi:[1,0,0]
	v_pk_mul_f32 v[58:59], v[58:59], s[0:1] op_sel_hi:[1,0]
	v_accvgpr_read_b32 v0, a1
	v_pk_add_f32 v[60:61], v[44:45], v[58:59] op_sel:[0,1] op_sel_hi:[1,0] neg_lo:[0,1] neg_hi:[0,1]
	v_pk_add_f32 v[44:45], v[44:45], v[58:59] op_sel:[0,1] op_sel_hi:[1,0]
	v_mov_b32_e32 v58, v60
	v_mov_b32_e32 v59, v45
	;; [unrolled: 1-line block ×3, first 2 shown]
	ds_write2_b64 v0, v[42:43], v[58:59] offset1:17
	ds_write_b64 v0, v[44:45] offset:272
	scratch_load_dword v0, off, off offset:20 ; 4-byte Folded Reload
	v_pk_add_f32 v[42:43], v[74:75], v[10:11]
	v_pk_add_f32 v[10:11], v[10:11], v[54:55] neg_lo:[0,1] neg_hi:[0,1]
	v_pk_fma_f32 v[8:9], v[8:9], 0.5, v[74:75] op_sel_hi:[1,0,1] neg_lo:[1,0,0] neg_hi:[1,0,0]
	v_pk_mul_f32 v[10:11], v[10:11], s[0:1] op_sel_hi:[1,0]
	s_mov_b32 s36, 0x3f7d64f0
	v_pk_add_f32 v[44:45], v[8:9], v[10:11] op_sel:[0,1] op_sel_hi:[1,0]
	v_pk_add_f32 v[8:9], v[8:9], v[10:11] op_sel:[0,1] op_sel_hi:[1,0] neg_lo:[0,1] neg_hi:[0,1]
	v_pk_add_f32 v[10:11], v[42:43], v[54:55]
	v_mov_b32_e32 v42, v8
	v_mov_b32_e32 v43, v45
	;; [unrolled: 1-line block ×3, first 2 shown]
	s_mov_b32 s30, 0x3f0a6770
	s_mov_b32 s34, 0x3f68dda4
	v_accvgpr_read_b32 v193, a145
	v_accvgpr_read_b32 v192, a144
	s_mov_b32 s44, s8
	s_mov_b32 s45, s34
	;; [unrolled: 1-line block ×4, first 2 shown]
	s_waitcnt vmcnt(0)
	ds_write2_b64 v0, v[10:11], v[42:43] offset1:17
	ds_write_b64 v0, v[44:45] offset:272
	v_pk_add_f32 v[0:1], v[6:7], v[2:3]
	v_pk_add_f32 v[10:11], v[14:15], v[16:17] neg_lo:[0,1] neg_hi:[0,1]
	v_pk_fma_f32 v[0:1], v[0:1], 0.5, v[68:69] op_sel_hi:[1,0,1] neg_lo:[1,0,0] neg_hi:[1,0,0]
	v_pk_mul_f32 v[10:11], v[10:11], s[0:1] op_sel_hi:[1,0]
	v_pk_add_f32 v[8:9], v[0:1], v[4:5] op_sel:[0,1] op_sel_hi:[1,0]
	v_pk_add_f32 v[0:1], v[0:1], v[4:5] op_sel:[0,1] op_sel_hi:[1,0] neg_lo:[0,1] neg_hi:[0,1]
	v_pk_add_f32 v[4:5], v[68:69], v[6:7]
	s_nop 0
	v_pk_add_f32 v[2:3], v[4:5], v[2:3]
	v_mov_b32_e32 v4, v0
	scratch_load_dword v0, off, off offset:16 ; 4-byte Folded Reload
	v_mov_b32_e32 v5, v9
	v_mov_b32_e32 v9, v1
	s_waitcnt vmcnt(0)
	ds_write2_b64 v0, v[2:3], v[4:5] offset1:17
	ds_write_b64 v0, v[8:9] offset:272
	v_pk_add_f32 v[0:1], v[32:33], v[34:35]
	v_pk_add_f32 v[4:5], v[32:33], v[34:35] neg_lo:[0,1] neg_hi:[0,1]
	v_pk_fma_f32 v[0:1], v[0:1], 0.5, v[70:71] op_sel_hi:[1,0,1] neg_lo:[1,0,0] neg_hi:[1,0,0]
	v_pk_mul_f32 v[4:5], v[4:5], s[0:1] op_sel_hi:[1,0]
	v_pk_add_f32 v[2:3], v[70:71], v[32:33]
	v_pk_add_f32 v[6:7], v[0:1], v[4:5] op_sel:[0,1] op_sel_hi:[1,0]
	v_pk_add_f32 v[0:1], v[0:1], v[4:5] op_sel:[0,1] op_sel_hi:[1,0] neg_lo:[0,1] neg_hi:[0,1]
	v_pk_add_f32 v[2:3], v[2:3], v[34:35]
	v_mov_b32_e32 v4, v0
	scratch_load_dword v0, off, off offset:12 ; 4-byte Folded Reload
	v_mov_b32_e32 v5, v7
	v_mov_b32_e32 v7, v1
	s_waitcnt vmcnt(0)
	ds_write2_b64 v0, v[2:3], v[4:5] offset1:17
	v_pk_add_f32 v[2:3], v[12:13], v[108:109]
	v_pk_add_f32 v[4:5], v[12:13], v[108:109] neg_lo:[0,1] neg_hi:[0,1]
	v_pk_fma_f32 v[2:3], v[2:3], 0.5, v[40:41] op_sel_hi:[1,0,1] neg_lo:[1,0,0] neg_hi:[1,0,0]
	v_pk_mul_f32 v[4:5], v[4:5], s[0:1] op_sel_hi:[1,0]
	ds_write_b64 v0, v[6:7] offset:272
	v_pk_add_f32 v[8:9], v[2:3], v[4:5] op_sel:[0,1] op_sel_hi:[1,0]
	v_pk_add_f32 v[2:3], v[2:3], v[4:5] op_sel:[0,1] op_sel_hi:[1,0] neg_lo:[0,1] neg_hi:[0,1]
	v_pk_add_f32 v[4:5], v[14:15], v[16:17]
	v_pk_add_f32 v[0:1], v[64:65], v[22:23]
	v_pk_fma_f32 v[4:5], v[4:5], 0.5, v[66:67] op_sel_hi:[1,0,1] neg_lo:[1,0,0] neg_hi:[1,0,0]
	v_pk_add_f32 v[0:1], v[0:1], v[20:21]
	v_pk_add_f32 v[18:19], v[4:5], v[10:11] op_sel:[0,1] op_sel_hi:[1,0]
	v_pk_add_f32 v[4:5], v[4:5], v[10:11] op_sel:[0,1] op_sel_hi:[1,0] neg_lo:[0,1] neg_hi:[0,1]
	v_pk_add_f32 v[10:11], v[22:23], v[20:21]
	s_nop 0
	v_pk_fma_f32 v[10:11], v[10:11], 0.5, v[64:65] op_sel_hi:[1,0,1] neg_lo:[1,0,0] neg_hi:[1,0,0]
	s_nop 0
	v_pk_add_f32 v[26:27], v[10:11], v[24:25] op_sel:[0,1] op_sel_hi:[1,0]
	v_pk_add_f32 v[10:11], v[10:11], v[24:25] op_sel:[0,1] op_sel_hi:[1,0] neg_lo:[0,1] neg_hi:[0,1]
	v_mov_b32_e32 v7, v27
	v_mov_b32_e32 v6, v10
	scratch_load_dword v10, off, off offset:8 ; 4-byte Folded Reload
	v_mov_b32_e32 v27, v11
	s_waitcnt vmcnt(0)
	ds_write2_b64 v10, v[0:1], v[6:7] offset1:17
	v_mov_b32_e32 v6, v4
	scratch_load_dword v4, off, off offset:4 ; 4-byte Folded Reload
	v_pk_add_f32 v[0:1], v[66:67], v[14:15]
	v_mov_b32_e32 v7, v19
	v_pk_add_f32 v[0:1], v[0:1], v[16:17]
	ds_write_b64 v10, v[26:27] offset:272
	v_mov_b32_e32 v19, v5
	v_mov_b32_e32 v5, v9
	;; [unrolled: 1-line block ×3, first 2 shown]
	v_accvgpr_read_b32 v16, a252
	v_accvgpr_read_b32 v17, a253
	s_waitcnt vmcnt(0)
	ds_write2_b64 v4, v[0:1], v[6:7] offset1:17
	v_pk_add_f32 v[0:1], v[40:41], v[12:13]
	ds_write_b64 v4, v[18:19] offset:272
	v_pk_add_f32 v[0:1], v[0:1], v[108:109]
	v_mov_b32_e32 v4, v2
	ds_write2_b64 v235, v[0:1], v[4:5] offset1:17
	ds_write_b64 v235, v[8:9] offset:272
	s_waitcnt lgkmcnt(0)
	; wave barrier
	s_waitcnt lgkmcnt(0)
	ds_read2_b64 v[66:69], v186 offset0:204 offset1:255
	ds_read2_b64 v[74:77], v53 offset0:50 offset1:101
	;; [unrolled: 1-line block ×3, first 2 shown]
	v_mov_b32_e32 v0, v123
	s_waitcnt lgkmcnt(2)
	v_pk_mul_f32 v[0:1], v[0:1], v[66:67] op_sel:[0,1] op_sel_hi:[1,0]
	s_nop 0
	v_pk_fma_f32 v[86:87], v[122:123], v[66:67], v[0:1]
	v_pk_mul_f32 v[0:1], v[122:123], v[66:67] op_sel:[0,1] op_sel_hi:[1,0]
	s_nop 0
	v_mov_b32_e32 v0, v1
	v_pk_fma_f32 v[88:89], v[122:123], v[66:67], v[0:1] op_sel:[0,1,0] op_sel_hi:[1,0,1] neg_lo:[0,0,1] neg_hi:[0,0,1]
	s_waitcnt lgkmcnt(1)
	v_pk_mul_f32 v[0:1], v[118:119], v[74:75]
	ds_read2_b64 v[70:73], v49 offset0:100 offset1:151
	ds_read2_b64 v[82:85], v49 offset0:202 offset1:253
	;; [unrolled: 1-line block ×3, first 2 shown]
	v_pk_fma_f32 v[90:91], v[124:125], v[74:75], v[0:1] op_sel:[0,0,1] op_sel_hi:[1,1,0]
	v_pk_fma_f32 v[0:1], v[124:125], v[74:75], v[0:1] op_sel:[0,0,1] op_sel_hi:[1,1,0] neg_lo:[0,0,1] neg_hi:[0,0,1]
	ds_read2_b64 v[30:33], v50 offset0:126 offset1:177
	v_mov_b32_e32 v91, v1
	s_waitcnt lgkmcnt(4)
	v_pk_mul_f32 v[0:1], v[136:137], v[80:81]
	s_waitcnt lgkmcnt(2)
	v_pk_mul_f32 v[2:3], v[154:155], v[82:83]
	v_pk_fma_f32 v[74:75], v[206:207], v[80:81], v[0:1] op_sel:[0,0,1] op_sel_hi:[1,1,0]
	v_pk_fma_f32 v[0:1], v[206:207], v[80:81], v[0:1] op_sel:[0,0,1] op_sel_hi:[1,1,0] neg_lo:[0,0,1] neg_hi:[0,0,1]
	v_pk_fma_f32 v[22:23], v[146:147], v[82:83], v[2:3] op_sel:[0,0,1] op_sel_hi:[1,1,0] neg_lo:[0,0,1] neg_hi:[0,0,1]
	v_mov_b32_e32 v75, v1
	v_pk_mul_f32 v[0:1], v[138:139], v[70:71]
	ds_read2_b64 v[26:29], v52 offset0:124 offset1:175
	v_pk_fma_f32 v[18:19], v[204:205], v[70:71], v[0:1] op_sel:[0,0,1] op_sel_hi:[1,1,0]
	v_pk_fma_f32 v[0:1], v[204:205], v[70:71], v[0:1] op_sel:[0,0,1] op_sel_hi:[1,1,0] neg_lo:[0,0,1] neg_hi:[0,0,1]
	v_pk_mul_f32 v[8:9], v[138:139], v[72:73]
	v_mov_b32_e32 v19, v1
	v_pk_mul_f32 v[0:1], v[148:149], v[68:69] op_sel:[1,0]
	s_waitcnt lgkmcnt(0)
	v_pk_mul_f32 v[6:7], v[194:195], v[26:27]
	v_pk_fma_f32 v[12:13], v[148:149], v[68:69], v[0:1] op_sel:[0,0,1] op_sel_hi:[1,1,0]
	v_pk_fma_f32 v[14:15], v[148:149], v[68:69], v[0:1] op_sel:[0,0,1] op_sel_hi:[0,1,0] neg_lo:[0,0,1] neg_hi:[0,0,1]
	v_pk_mul_f32 v[0:1], v[150:151], v[78:79]
	v_accvgpr_read_b32 v197, a151
	v_pk_fma_f32 v[122:123], v[120:121], v[78:79], v[0:1] op_sel:[0,0,1] op_sel_hi:[1,1,0]
	v_pk_fma_f32 v[20:21], v[120:121], v[78:79], v[0:1] op_sel:[0,0,1] op_sel_hi:[1,1,0] neg_lo:[0,0,1] neg_hi:[0,0,1]
	v_pk_mul_f32 v[0:1], v[188:189], v[84:85]
	v_pk_fma_f32 v[120:121], v[146:147], v[82:83], v[2:3] op_sel:[0,0,1] op_sel_hi:[1,1,0]
	v_pk_fma_f32 v[2:3], v[92:93], v[84:85], v[0:1] op_sel:[0,0,1] op_sel_hi:[1,1,0]
	v_pk_fma_f32 v[0:1], v[92:93], v[84:85], v[0:1] op_sel:[0,0,1] op_sel_hi:[1,1,0] neg_lo:[0,0,1] neg_hi:[0,0,1]
	ds_read2_b64 v[68:71], v48 offset0:200 offset1:251
	v_mov_b32_e32 v3, v1
	v_pk_mul_f32 v[0:1], v[118:119], v[76:77]
	v_accvgpr_read_b32 v196, a150
	v_pk_fma_f32 v[118:119], v[124:125], v[76:77], v[0:1] op_sel:[0,0,1] op_sel_hi:[1,1,0]
	v_pk_fma_f32 v[116:117], v[124:125], v[76:77], v[0:1] op_sel:[0,0,1] op_sel_hi:[1,1,0] neg_lo:[0,0,1] neg_hi:[0,0,1]
	v_pk_mul_f32 v[0:1], v[190:191], v[64:65]
	v_pk_fma_f32 v[124:125], v[144:145], v[26:27], v[6:7] op_sel:[0,0,1] op_sel_hi:[1,1,0]
	v_pk_fma_f32 v[4:5], v[226:227], v[64:65], v[0:1] op_sel:[0,0,1] op_sel_hi:[1,1,0]
	v_pk_fma_f32 v[0:1], v[226:227], v[64:65], v[0:1] op_sel:[0,0,1] op_sel_hi:[1,1,0] neg_lo:[0,0,1] neg_hi:[0,0,1]
	v_pk_fma_f32 v[76:77], v[144:145], v[26:27], v[6:7] op_sel:[0,0,1] op_sel_hi:[1,1,0] neg_lo:[0,0,1] neg_hi:[0,0,1]
	v_mov_b32_e32 v5, v1
	v_pk_mul_f32 v[0:1], v[152:153], v[32:33]
	v_pk_fma_f32 v[84:85], v[204:205], v[72:73], v[8:9] op_sel:[0,0,1] op_sel_hi:[1,1,0]
	v_pk_fma_f32 v[126:127], v[140:141], v[32:33], v[0:1] op_sel:[0,0,1] op_sel_hi:[1,1,0]
	v_pk_fma_f32 v[24:25], v[140:141], v[32:33], v[0:1] op_sel:[0,0,1] op_sel_hi:[1,1,0] neg_lo:[0,0,1] neg_hi:[0,0,1]
	v_pk_mul_f32 v[0:1], v[136:137], v[30:31]
	v_pk_fma_f32 v[82:83], v[204:205], v[72:73], v[8:9] op_sel:[0,0,1] op_sel_hi:[1,1,0] neg_lo:[0,0,1] neg_hi:[0,0,1]
	v_pk_fma_f32 v[80:81], v[206:207], v[30:31], v[0:1] op_sel:[0,0,1] op_sel_hi:[1,1,0]
	v_pk_fma_f32 v[64:65], v[206:207], v[30:31], v[0:1] op_sel:[0,0,1] op_sel_hi:[1,1,0] neg_lo:[0,0,1] neg_hi:[0,0,1]
	v_pk_mul_f32 v[0:1], v[182:183], v[28:29]
	v_accvgpr_read_b32 v204, a222
	v_pk_fma_f32 v[6:7], v[222:223], v[28:29], v[0:1] op_sel:[0,0,1] op_sel_hi:[1,1,0]
	v_pk_fma_f32 v[0:1], v[222:223], v[28:29], v[0:1] op_sel:[0,0,1] op_sel_hi:[1,1,0] neg_lo:[0,0,1] neg_hi:[0,0,1]
	ds_read2_b64 v[26:29], v51 offset0:46 offset1:97
	ds_read2_b64 v[60:63], v46 offset0:122 offset1:173
	v_accvgpr_read_b32 v205, a223
	v_accvgpr_read_b32 v206, a228
	v_mov_b32_e32 v7, v1
	s_waitcnt lgkmcnt(1)
	v_pk_mul_f32 v[10:11], v[196:197], v[26:27]
	v_pk_mul_f32 v[8:9], v[252:253], v[28:29]
	v_pk_fma_f32 v[128:129], v[16:17], v[26:27], v[10:11] op_sel:[0,0,1] op_sel_hi:[1,1,0]
	v_pk_fma_f32 v[72:73], v[16:17], v[26:27], v[10:11] op_sel:[0,0,1] op_sel_hi:[1,1,0] neg_lo:[0,0,1] neg_hi:[0,0,1]
	ds_read_b64 v[26:27], v186 offset:13056
	v_pk_mul_f32 v[0:1], v[184:185], v[68:69]
	v_pk_fma_f32 v[10:11], v[204:205], v[28:29], v[8:9] op_sel:[0,0,1] op_sel_hi:[1,1,0]
	v_pk_fma_f32 v[8:9], v[204:205], v[28:29], v[8:9] op_sel:[0,0,1] op_sel_hi:[1,1,0] neg_lo:[0,0,1] neg_hi:[0,0,1]
	v_accvgpr_read_b32 v207, a229
	v_accvgpr_read_b32 v199, a159
	v_pk_fma_f32 v[28:29], v[206:207], v[68:69], v[0:1] op_sel:[0,0,1] op_sel_hi:[1,1,0]
	v_pk_fma_f32 v[0:1], v[206:207], v[68:69], v[0:1] op_sel:[0,0,1] op_sel_hi:[1,1,0] neg_lo:[0,0,1] neg_hi:[0,0,1]
	v_mov_b32_e32 v11, v9
	v_accvgpr_read_b32 v198, a158
	v_accvgpr_read_b32 v8, a254
	v_mov_b32_e32 v29, v1
	s_waitcnt lgkmcnt(0)
	v_pk_mul_f32 v[0:1], v[198:199], v[26:27]
	v_accvgpr_read_b32 v9, a255
	v_accvgpr_read_b32 v198, a220
	ds_read2_b64 v[56:59], v186 offset0:102 offset1:153
	v_pk_fma_f32 v[16:17], v[8:9], v[26:27], v[0:1] op_sel:[0,0,1] op_sel_hi:[1,1,0]
	v_pk_fma_f32 v[130:131], v[8:9], v[26:27], v[0:1] op_sel:[0,0,1] op_sel_hi:[1,1,0] neg_lo:[0,0,1] neg_hi:[0,0,1]
	v_pk_mul_f32 v[0:1], v[254:255], v[60:61]
	v_accvgpr_read_b32 v199, a221
	v_pk_fma_f32 v[8:9], v[198:199], v[60:61], v[0:1] op_sel:[0,0,1] op_sel_hi:[1,1,0]
	v_pk_fma_f32 v[0:1], v[198:199], v[60:61], v[0:1] op_sel:[0,0,1] op_sel_hi:[1,1,0] neg_lo:[0,0,1] neg_hi:[0,0,1]
	v_accvgpr_read_b32 v30, a108
	v_mov_b32_e32 v9, v1
	v_accvgpr_read_b32 v0, a118
	v_accvgpr_read_b32 v1, a119
	s_waitcnt lgkmcnt(0)
	v_pk_mul_f32 v[0:1], v[0:1], v[58:59]
	v_accvgpr_read_b32 v31, a109
	v_pk_fma_f32 v[26:27], v[30:31], v[58:59], v[0:1] op_sel:[0,0,1] op_sel_hi:[1,1,0]
	v_pk_fma_f32 v[0:1], v[30:31], v[58:59], v[0:1] op_sel:[0,0,1] op_sel_hi:[1,1,0] neg_lo:[0,0,1] neg_hi:[0,0,1]
	ds_read2_b64 v[58:61], v186 offset1:51
	v_mov_b32_e32 v27, v1
	v_pk_add_f32 v[78:79], v[2:3], v[4:5]
	v_mov_b32_e32 v123, v21
	v_mov_b32_e32 v121, v23
	s_waitcnt lgkmcnt(0)
	v_pk_add_f32 v[0:1], v[58:59], v[26:27]
	ds_read2_b64 v[20:23], v47 offset0:48 offset1:99
	v_pk_add_f32 v[0:1], v[0:1], v[90:91]
	v_mov_b32_e32 v125, v77
	v_pk_add_f32 v[0:1], v[0:1], v[74:75]
	v_mov_b32_e32 v129, v73
	v_pk_add_f32 v[0:1], v[0:1], v[18:19]
	v_accvgpr_read_b32 v195, a149
	v_pk_add_f32 v[0:1], v[0:1], v[2:3]
	v_pk_add_f32 v[2:3], v[2:3], v[4:5] neg_lo:[0,1] neg_hi:[0,1]
	v_pk_add_f32 v[0:1], v[0:1], v[4:5]
	v_pk_mul_f32 v[4:5], v[2:3], s[28:29] op_sel_hi:[1,0]
	v_pk_add_f32 v[0:1], v[0:1], v[6:7]
	v_pk_fma_f32 v[96:97], v[78:79], s[26:27], v[4:5] op_sel:[0,0,1] op_sel_hi:[1,0,0]
	v_pk_add_f32 v[0:1], v[0:1], v[28:29]
	v_pk_fma_f32 v[4:5], v[78:79], s[26:27], v[4:5] op_sel:[0,0,1] op_sel_hi:[1,0,0] neg_lo:[0,0,1] neg_hi:[0,0,1]
	v_pk_add_f32 v[0:1], v[0:1], v[10:11]
	v_accvgpr_read_b32 v194, a148
	v_pk_add_f32 v[98:99], v[0:1], v[8:9]
	v_pk_add_f32 v[0:1], v[26:27], v[8:9]
	v_pk_add_f32 v[8:9], v[26:27], v[8:9] neg_lo:[0,1] neg_hi:[0,1]
	v_pk_add_f32 v[26:27], v[90:91], v[10:11]
	v_pk_add_f32 v[10:11], v[90:91], v[10:11] neg_lo:[0,1] neg_hi:[0,1]
	v_pk_mul_f32 v[30:31], v[8:9], s[24:25] op_sel_hi:[1,0]
	v_pk_mul_f32 v[36:37], v[10:11], s[38:39] op_sel_hi:[1,0]
	v_pk_fma_f32 v[32:33], v[0:1], s[14:15], v[30:31] op_sel:[0,0,1] op_sel_hi:[1,0,0]
	v_pk_fma_f32 v[30:31], v[0:1], s[14:15], v[30:31] op_sel:[0,0,1] op_sel_hi:[1,0,0] neg_lo:[0,0,1] neg_hi:[0,0,1]
	v_mov_b32_e32 v34, v32
	v_mov_b32_e32 v35, v31
	v_pk_fma_f32 v[38:39], v[26:27], s[8:9], v[36:37] op_sel:[0,0,1] op_sel_hi:[1,0,0]
	v_pk_fma_f32 v[36:37], v[26:27], s[8:9], v[36:37] op_sel:[0,0,1] op_sel_hi:[1,0,0] neg_lo:[0,0,1] neg_hi:[0,0,1]
	v_pk_add_f32 v[34:35], v[58:59], v[34:35]
	v_mov_b32_e32 v40, v38
	v_mov_b32_e32 v41, v37
	v_pk_add_f32 v[34:35], v[40:41], v[34:35]
	v_pk_add_f32 v[40:41], v[74:75], v[28:29]
	v_pk_add_f32 v[28:29], v[74:75], v[28:29] neg_lo:[0,1] neg_hi:[0,1]
	v_pk_mul_f32 v[90:91], v[10:11], s[22:23] op_sel_hi:[1,0]
	v_pk_mul_f32 v[42:43], v[28:29], s[18:19] op_sel_hi:[1,0]
	v_pk_fma_f32 v[108:109], v[26:27], s[20:21], v[90:91] op_sel:[0,0,1] op_sel_hi:[1,0,0]
	v_pk_fma_f32 v[44:45], v[40:41], s[16:17], v[42:43] op_sel:[0,0,1] op_sel_hi:[1,0,0]
	v_pk_fma_f32 v[42:43], v[40:41], s[16:17], v[42:43] op_sel:[0,0,1] op_sel_hi:[1,0,0] neg_lo:[0,0,1] neg_hi:[0,0,1]
	v_mov_b32_e32 v54, v44
	v_mov_b32_e32 v55, v43
	v_pk_add_f32 v[34:35], v[54:55], v[34:35]
	v_pk_add_f32 v[54:55], v[18:19], v[6:7]
	v_pk_add_f32 v[6:7], v[18:19], v[6:7] neg_lo:[0,1] neg_hi:[0,1]
	v_pk_fma_f32 v[112:113], v[26:27], s[20:21], v[90:91] op_sel:[0,0,1] op_sel_hi:[1,0,0] neg_lo:[0,0,1] neg_hi:[0,0,1]
	v_pk_mul_f32 v[18:19], v[6:7], s[22:23] op_sel_hi:[1,0]
	v_mov_b32_e32 v90, v108
	v_pk_fma_f32 v[74:75], v[54:55], s[20:21], v[18:19] op_sel:[0,0,1] op_sel_hi:[1,0,0]
	v_pk_fma_f32 v[18:19], v[54:55], s[20:21], v[18:19] op_sel:[0,0,1] op_sel_hi:[1,0,0] neg_lo:[0,0,1] neg_hi:[0,0,1]
	v_mov_b32_e32 v68, v74
	v_mov_b32_e32 v69, v19
	v_pk_add_f32 v[34:35], v[68:69], v[34:35]
	v_mov_b32_e32 v68, v96
	v_mov_b32_e32 v69, v5
	v_pk_add_f32 v[114:115], v[68:69], v[34:35]
	v_pk_mul_f32 v[34:35], v[8:9], s[38:39] op_sel_hi:[1,0]
	v_mov_b32_e32 v91, v113
	v_pk_fma_f32 v[104:105], v[0:1], s[8:9], v[34:35] op_sel:[0,0,1] op_sel_hi:[1,0,0]
	v_pk_fma_f32 v[34:35], v[0:1], s[8:9], v[34:35] op_sel:[0,0,1] op_sel_hi:[1,0,0] neg_lo:[0,0,1] neg_hi:[0,0,1]
	v_mov_b32_e32 v68, v104
	v_mov_b32_e32 v69, v35
	v_pk_add_f32 v[68:69], v[58:59], v[68:69]
	v_pk_mul_f32 v[94:95], v[10:11], s[40:41] op_sel_hi:[1,0]
	v_pk_add_f32 v[68:69], v[90:91], v[68:69]
	v_pk_mul_f32 v[90:91], v[28:29], s[40:41] op_sel_hi:[1,0]
	v_pk_fma_f32 v[146:147], v[26:27], s[26:27], v[94:95] op_sel:[0,0,1] op_sel_hi:[1,0,0]
	v_pk_fma_f32 v[132:133], v[40:41], s[26:27], v[90:91] op_sel:[0,0,1] op_sel_hi:[1,0,0]
	v_pk_fma_f32 v[134:135], v[40:41], s[26:27], v[90:91] op_sel:[0,0,1] op_sel_hi:[1,0,0] neg_lo:[0,0,1] neg_hi:[0,0,1]
	v_mov_b32_e32 v90, v132
	v_mov_b32_e32 v91, v135
	v_pk_add_f32 v[68:69], v[90:91], v[68:69]
	v_pk_mul_f32 v[90:91], v[6:7], s[36:37] op_sel_hi:[1,0]
	v_pk_fma_f32 v[148:149], v[26:27], s[26:27], v[94:95] op_sel:[0,0,1] op_sel_hi:[1,0,0] neg_lo:[0,0,1] neg_hi:[0,0,1]
	v_pk_fma_f32 v[136:137], v[54:55], s[16:17], v[90:91] op_sel:[0,0,1] op_sel_hi:[1,0,0]
	v_pk_fma_f32 v[138:139], v[54:55], s[16:17], v[90:91] op_sel:[0,0,1] op_sel_hi:[1,0,0] neg_lo:[0,0,1] neg_hi:[0,0,1]
	v_mov_b32_e32 v90, v136
	v_mov_b32_e32 v91, v139
	v_pk_add_f32 v[68:69], v[90:91], v[68:69]
	v_pk_mul_f32 v[90:91], v[2:3], s[30:31] op_sel_hi:[1,0]
	v_mov_b32_e32 v94, v146
	v_pk_fma_f32 v[140:141], v[78:79], s[14:15], v[90:91] op_sel:[0,0,1] op_sel_hi:[1,0,0]
	v_pk_fma_f32 v[142:143], v[78:79], s[14:15], v[90:91] op_sel:[0,0,1] op_sel_hi:[1,0,0] neg_lo:[0,0,1] neg_hi:[0,0,1]
	v_mov_b32_e32 v90, v140
	v_mov_b32_e32 v91, v143
	v_pk_add_f32 v[68:69], v[90:91], v[68:69]
	v_pk_mul_f32 v[90:91], v[8:9], s[18:19] op_sel_hi:[1,0]
	v_mov_b32_e32 v95, v149
	v_pk_fma_f32 v[102:103], v[0:1], s[16:17], v[90:91] op_sel:[0,0,1] op_sel_hi:[1,0,0]
	v_pk_fma_f32 v[144:145], v[0:1], s[16:17], v[90:91] op_sel:[0,0,1] op_sel_hi:[1,0,0] neg_lo:[0,0,1] neg_hi:[0,0,1]
	v_mov_b32_e32 v90, v102
	v_mov_b32_e32 v91, v145
	v_pk_add_f32 v[90:91], v[58:59], v[90:91]
	v_mov_b32_e32 v145, v103
	v_pk_add_f32 v[90:91], v[94:95], v[90:91]
	v_pk_mul_f32 v[94:95], v[28:29], s[34:35] op_sel_hi:[1,0]
	v_mov_b32_e32 v149, v147
	v_pk_fma_f32 v[150:151], v[40:41], s[8:9], v[94:95] op_sel:[0,0,1] op_sel_hi:[1,0,0]
	v_pk_fma_f32 v[152:153], v[40:41], s[8:9], v[94:95] op_sel:[0,0,1] op_sel_hi:[1,0,0] neg_lo:[0,0,1] neg_hi:[0,0,1]
	v_mov_b32_e32 v94, v150
	v_mov_b32_e32 v95, v153
	v_pk_add_f32 v[90:91], v[94:95], v[90:91]
	v_pk_mul_f32 v[94:95], v[6:7], s[24:25] op_sel_hi:[1,0]
	v_mov_b32_e32 v153, v151
	v_pk_fma_f32 v[154:155], v[54:55], s[14:15], v[94:95] op_sel:[0,0,1] op_sel_hi:[1,0,0]
	v_pk_fma_f32 v[156:157], v[54:55], s[14:15], v[94:95] op_sel:[0,0,1] op_sel_hi:[1,0,0] neg_lo:[0,0,1] neg_hi:[0,0,1]
	v_mov_b32_e32 v94, v154
	;; [unrolled: 7-line block ×3, first 2 shown]
	v_mov_b32_e32 v95, v161
	v_pk_add_f32 v[106:107], v[94:95], v[90:91]
	v_pk_mul_f32 v[90:91], v[8:9], s[22:23] op_sel_hi:[1,0]
	v_pk_mul_f32 v[94:95], v[10:11], s[36:37] op_sel_hi:[1,0]
	v_pk_fma_f32 v[100:101], v[0:1], s[20:21], v[90:91] op_sel:[0,0,1] op_sel_hi:[1,0,0]
	v_pk_fma_f32 v[162:163], v[0:1], s[20:21], v[90:91] op_sel:[0,0,1] op_sel_hi:[1,0,0] neg_lo:[0,0,1] neg_hi:[0,0,1]
	v_mov_b32_e32 v90, v100
	v_mov_b32_e32 v91, v163
	v_pk_fma_f32 v[164:165], v[26:27], s[16:17], v[94:95] op_sel:[0,0,1] op_sel_hi:[1,0,0]
	v_pk_fma_f32 v[166:167], v[26:27], s[16:17], v[94:95] op_sel:[0,0,1] op_sel_hi:[1,0,0] neg_lo:[0,0,1] neg_hi:[0,0,1]
	v_pk_add_f32 v[90:91], v[58:59], v[90:91]
	v_mov_b32_e32 v94, v164
	v_mov_b32_e32 v95, v167
	v_pk_add_f32 v[90:91], v[94:95], v[90:91]
	v_pk_mul_f32 v[94:95], v[28:29], s[24:25] op_sel_hi:[1,0]
	v_pk_mul_f32 v[8:9], v[8:9], s[28:29] op_sel_hi:[1,0]
	v_pk_fma_f32 v[168:169], v[40:41], s[14:15], v[94:95] op_sel:[0,0,1] op_sel_hi:[1,0,0]
	v_pk_fma_f32 v[170:171], v[40:41], s[14:15], v[94:95] op_sel:[0,0,1] op_sel_hi:[1,0,0] neg_lo:[0,0,1] neg_hi:[0,0,1]
	v_mov_b32_e32 v94, v168
	v_mov_b32_e32 v95, v171
	v_pk_add_f32 v[90:91], v[94:95], v[90:91]
	v_pk_mul_f32 v[94:95], v[6:7], s[28:29] op_sel_hi:[1,0]
	v_pk_mul_f32 v[28:29], v[28:29], s[22:23] op_sel_hi:[1,0]
	v_pk_fma_f32 v[172:173], v[54:55], s[26:27], v[94:95] op_sel:[0,0,1] op_sel_hi:[1,0,0]
	v_pk_fma_f32 v[174:175], v[54:55], s[26:27], v[94:95] op_sel:[0,0,1] op_sel_hi:[1,0,0] neg_lo:[0,0,1] neg_hi:[0,0,1]
	v_mov_b32_e32 v94, v172
	v_mov_b32_e32 v95, v175
	v_pk_add_f32 v[90:91], v[94:95], v[90:91]
	v_pk_mul_f32 v[94:95], v[2:3], s[34:35] op_sel_hi:[1,0]
	v_pk_fma_f32 v[180:181], v[40:41], s[20:21], v[28:29] op_sel:[0,0,1] op_sel_hi:[1,0,0]
	v_pk_fma_f32 v[176:177], v[78:79], s[8:9], v[94:95] op_sel:[0,0,1] op_sel_hi:[1,0,0]
	v_pk_fma_f32 v[178:179], v[78:79], s[8:9], v[94:95] op_sel:[0,0,1] op_sel_hi:[1,0,0] neg_lo:[0,0,1] neg_hi:[0,0,1]
	v_mov_b32_e32 v94, v176
	v_mov_b32_e32 v95, v179
	v_pk_add_f32 v[90:91], v[94:95], v[90:91]
	v_pk_fma_f32 v[94:95], v[0:1], s[26:27], v[8:9] op_sel:[0,0,1] op_sel_hi:[1,0,0]
	v_pk_fma_f32 v[0:1], v[0:1], s[26:27], v[8:9] op_sel:[0,0,1] op_sel_hi:[1,0,0] neg_lo:[0,0,1] neg_hi:[0,0,1]
	v_pk_mul_f32 v[8:9], v[10:11], s[30:31] op_sel_hi:[1,0]
	v_pk_fma_f32 v[28:29], v[40:41], s[20:21], v[28:29] op_sel:[0,0,1] op_sel_hi:[1,0,0] neg_lo:[0,0,1] neg_hi:[0,0,1]
	v_pk_fma_f32 v[10:11], v[26:27], s[14:15], v[8:9] op_sel:[0,0,1] op_sel_hi:[1,0,0]
	v_pk_fma_f32 v[8:9], v[26:27], s[14:15], v[8:9] op_sel:[0,0,1] op_sel_hi:[1,0,0] neg_lo:[0,0,1] neg_hi:[0,0,1]
	v_mov_b32_e32 v26, v94
	v_mov_b32_e32 v27, v1
	v_pk_add_f32 v[26:27], v[58:59], v[26:27]
	v_mov_b32_e32 v110, v10
	v_mov_b32_e32 v111, v9
	v_pk_add_f32 v[26:27], v[110:111], v[26:27]
	v_mov_b32_e32 v40, v180
	v_mov_b32_e32 v41, v29
	v_pk_mul_f32 v[6:7], v[6:7], s[34:35] op_sel_hi:[1,0]
	v_mov_b32_e32 v1, v95
	v_pk_add_f32 v[26:27], v[40:41], v[26:27]
	v_pk_fma_f32 v[40:41], v[54:55], s[8:9], v[6:7] op_sel:[0,0,1] op_sel_hi:[1,0,0]
	v_pk_fma_f32 v[6:7], v[54:55], s[8:9], v[6:7] op_sel:[0,0,1] op_sel_hi:[1,0,0] neg_lo:[0,0,1] neg_hi:[0,0,1]
	v_mov_b32_e32 v9, v11
	v_pk_add_f32 v[0:1], v[58:59], v[0:1]
	v_mov_b32_e32 v54, v40
	v_mov_b32_e32 v55, v7
	v_pk_mul_f32 v[2:3], v[2:3], s[18:19] op_sel_hi:[1,0]
	v_pk_add_f32 v[0:1], v[8:9], v[0:1]
	v_mov_b32_e32 v29, v181
	v_pk_add_f32 v[26:27], v[54:55], v[26:27]
	v_pk_fma_f32 v[54:55], v[78:79], s[16:17], v[2:3] op_sel:[0,0,1] op_sel_hi:[1,0,0]
	v_pk_fma_f32 v[2:3], v[78:79], s[16:17], v[2:3] op_sel:[0,0,1] op_sel_hi:[1,0,0] neg_lo:[0,0,1] neg_hi:[0,0,1]
	v_pk_add_f32 v[0:1], v[28:29], v[0:1]
	v_mov_b32_e32 v7, v41
	v_mov_b32_e32 v79, v3
	v_pk_add_f32 v[0:1], v[6:7], v[0:1]
	v_mov_b32_e32 v3, v55
	v_mov_b32_e32 v163, v101
	v_pk_add_f32 v[94:95], v[2:3], v[0:1]
	v_mov_b32_e32 v167, v165
	v_pk_add_f32 v[0:1], v[58:59], v[162:163]
	;; [unrolled: 2-line block ×6, first 2 shown]
	v_pk_add_f32 v[0:1], v[58:59], v[144:145]
	v_mov_b32_e32 v35, v105
	v_pk_add_f32 v[0:1], v[148:149], v[0:1]
	v_mov_b32_e32 v113, v109
	;; [unrolled: 2-line block ×4, first 2 shown]
	v_pk_add_f32 v[102:103], v[160:161], v[0:1]
	v_pk_add_f32 v[0:1], v[58:59], v[34:35]
	v_mov_b32_e32 v143, v141
	v_pk_add_f32 v[0:1], v[112:113], v[0:1]
	v_mov_b32_e32 v31, v33
	;; [unrolled: 2-line block ×4, first 2 shown]
	v_pk_add_f32 v[108:109], v[142:143], v[0:1]
	v_pk_add_f32 v[0:1], v[58:59], v[30:31]
	;; [unrolled: 1-line block ×4, first 2 shown]
	v_mov_b32_e32 v43, v45
	ds_read2_b64 v[76:79], v48 offset0:98 offset1:149
	v_pk_add_f32 v[0:1], v[42:43], v[0:1]
	v_mov_b32_e32 v19, v75
	v_pk_add_f32 v[0:1], v[18:19], v[0:1]
	v_mov_b32_e32 v5, v97
	v_accvgpr_read_b32 v2, a246
	ds_read2_b64 v[72:75], v51 offset0:148 offset1:199
	v_pk_add_f32 v[112:113], v[4:5], v[0:1]
	s_waitcnt lgkmcnt(2)
	v_pk_mul_f32 v[0:1], v[192:193], v[22:23]
	v_accvgpr_read_b32 v3, a247
	v_pk_fma_f32 v[18:19], v[2:3], v[22:23], v[0:1] op_sel:[0,0,1] op_sel_hi:[1,1,0]
	v_pk_fma_f32 v[0:1], v[2:3], v[22:23], v[0:1] op_sel:[0,0,1] op_sel_hi:[1,1,0] neg_lo:[0,0,1] neg_hi:[0,0,1]
	v_accvgpr_read_b32 v2, a248
	v_mov_b32_e32 v19, v1
	s_waitcnt lgkmcnt(1)
	v_pk_mul_f32 v[0:1], v[194:195], v[78:79]
	v_accvgpr_read_b32 v3, a249
	v_accvgpr_read_b32 v197, a157
	;; [unrolled: 1-line block ×3, first 2 shown]
	v_mov_b32_e32 v127, v25
	v_pk_fma_f32 v[24:25], v[2:3], v[78:79], v[0:1] op_sel:[0,0,1] op_sel_hi:[1,1,0]
	v_pk_fma_f32 v[0:1], v[2:3], v[78:79], v[0:1] op_sel:[0,0,1] op_sel_hi:[1,1,0] neg_lo:[0,0,1] neg_hi:[0,0,1]
	v_accvgpr_read_b32 v2, a250
	v_mov_b32_e32 v25, v1
	s_waitcnt lgkmcnt(0)
	v_pk_mul_f32 v[0:1], v[196:197], v[74:75]
	v_accvgpr_read_b32 v3, a251
	v_pk_fma_f32 v[26:27], v[2:3], v[74:75], v[0:1] op_sel:[0,0,1] op_sel_hi:[1,1,0]
	v_pk_fma_f32 v[0:1], v[2:3], v[74:75], v[0:1] op_sel:[0,0,1] op_sel_hi:[1,1,0] neg_lo:[0,0,1] neg_hi:[0,0,1]
	v_mov_b32_e32 v13, v15
	v_mov_b32_e32 v27, v1
	v_pk_mul_f32 v[0:1], v[188:189], v[20:21]
	v_mov_b32_e32 v17, v131
	v_pk_fma_f32 v[132:133], v[92:93], v[20:21], v[0:1] op_sel:[0,0,1] op_sel_hi:[1,1,0]
	v_pk_fma_f32 v[130:131], v[92:93], v[20:21], v[0:1] op_sel:[0,0,1] op_sel_hi:[1,1,0] neg_lo:[0,0,1] neg_hi:[0,0,1]
	v_pk_add_f32 v[0:1], v[56:57], v[12:13]
	v_pk_add_f32 v[78:79], v[12:13], v[16:17] neg_lo:[0,1] neg_hi:[0,1]
	v_pk_add_f32 v[0:1], v[0:1], v[122:123]
	v_pk_add_f32 v[74:75], v[12:13], v[16:17]
	;; [unrolled: 1-line block ×3, first 2 shown]
	v_pk_add_f32 v[14:15], v[122:123], v[26:27] neg_lo:[0,1] neg_hi:[0,1]
	v_pk_add_f32 v[0:1], v[0:1], v[120:121]
	v_pk_mul_f32 v[2:3], v[182:183], v[76:77]
	v_pk_add_f32 v[0:1], v[0:1], v[18:19]
	v_pk_add_f32 v[12:13], v[122:123], v[26:27]
	;; [unrolled: 1-line block ×3, first 2 shown]
	v_pk_fma_f32 v[34:35], v[222:223], v[76:77], v[2:3] op_sel:[0,0,1] op_sel_hi:[1,1,0]
	v_pk_add_f32 v[0:1], v[0:1], v[24:25]
	v_pk_add_f32 v[96:97], v[126:127], v[128:129] neg_lo:[0,1] neg_hi:[0,1]
	v_pk_add_f32 v[0:1], v[0:1], v[128:129]
	v_pk_mul_f32 v[6:7], v[184:185], v[70:71]
	v_pk_add_f32 v[0:1], v[0:1], v[26:27]
	v_pk_fma_f32 v[26:27], v[222:223], v[76:77], v[2:3] op_sel:[0,0,1] op_sel_hi:[1,1,0] neg_lo:[0,0,1] neg_hi:[0,0,1]
	v_pk_add_f32 v[92:93], v[0:1], v[16:17]
	v_pk_mul_f32 v[0:1], v[78:79], s[24:25] op_sel_hi:[1,0]
	v_pk_mul_f32 v[2:3], v[14:15], s[38:39] op_sel_hi:[1,0]
	v_pk_fma_f32 v[8:9], v[74:75], s[14:15], v[0:1] op_sel:[0,0,1] op_sel_hi:[1,0,0]
	v_pk_fma_f32 v[58:59], v[74:75], s[14:15], v[0:1] op_sel:[0,0,1] op_sel_hi:[1,0,0] neg_lo:[0,0,1] neg_hi:[0,0,1]
	v_pk_mul_f32 v[0:1], v[190:191], v[66:67]
	v_pk_fma_f32 v[4:5], v[12:13], s[8:9], v[2:3] op_sel:[0,0,1] op_sel_hi:[1,0,0]
	v_pk_fma_f32 v[22:23], v[226:227], v[66:67], v[0:1] op_sel:[0,0,1] op_sel_hi:[1,1,0]
	v_pk_fma_f32 v[20:21], v[226:227], v[66:67], v[0:1] op_sel:[0,0,1] op_sel_hi:[1,1,0] neg_lo:[0,0,1] neg_hi:[0,0,1]
	v_mov_b32_e32 v0, v8
	v_mov_b32_e32 v1, v59
	v_pk_fma_f32 v[10:11], v[12:13], s[8:9], v[2:3] op_sel:[0,0,1] op_sel_hi:[1,0,0] neg_lo:[0,0,1] neg_hi:[0,0,1]
	v_pk_add_f32 v[0:1], v[56:57], v[0:1]
	v_mov_b32_e32 v2, v4
	v_mov_b32_e32 v3, v11
	v_pk_add_f32 v[0:1], v[2:3], v[0:1]
	v_pk_add_f32 v[76:77], v[126:127], v[128:129]
	v_pk_mul_f32 v[2:3], v[96:97], s[18:19] op_sel_hi:[1,0]
	v_pk_fma_f32 v[30:31], v[206:207], v[70:71], v[6:7] op_sel:[0,0,1] op_sel_hi:[1,1,0]
	v_pk_fma_f32 v[32:33], v[206:207], v[70:71], v[6:7] op_sel:[0,0,1] op_sel_hi:[1,1,0] neg_lo:[0,0,1] neg_hi:[0,0,1]
	v_pk_fma_f32 v[6:7], v[76:77], s[16:17], v[2:3] op_sel:[0,0,1] op_sel_hi:[1,0,0]
	v_pk_fma_f32 v[66:67], v[76:77], s[16:17], v[2:3] op_sel:[0,0,1] op_sel_hi:[1,0,0] neg_lo:[0,0,1] neg_hi:[0,0,1]
	v_mov_b32_e32 v2, v6
	v_mov_b32_e32 v3, v67
	v_pk_add_f32 v[104:105], v[120:121], v[24:25]
	v_pk_add_f32 v[120:121], v[120:121], v[24:25] neg_lo:[0,1] neg_hi:[0,1]
	v_pk_add_f32 v[2:3], v[2:3], v[0:1]
	v_pk_mul_f32 v[0:1], v[252:253], v[72:73]
	v_pk_mul_f32 v[16:17], v[120:121], s[22:23] op_sel_hi:[1,0]
	v_pk_fma_f32 v[24:25], v[204:205], v[72:73], v[0:1] op_sel:[0,0,1] op_sel_hi:[1,1,0]
	v_pk_fma_f32 v[28:29], v[204:205], v[72:73], v[0:1] op_sel:[0,0,1] op_sel_hi:[1,1,0] neg_lo:[0,0,1] neg_hi:[0,0,1]
	v_pk_fma_f32 v[0:1], v[104:105], s[20:21], v[16:17] op_sel:[0,0,1] op_sel_hi:[1,0,0]
	v_pk_fma_f32 v[70:71], v[104:105], s[20:21], v[16:17] op_sel:[0,0,1] op_sel_hi:[1,0,0] neg_lo:[0,0,1] neg_hi:[0,0,1]
	v_mov_b32_e32 v16, v0
	v_mov_b32_e32 v17, v71
	v_pk_add_f32 v[122:123], v[18:19], v[124:125] neg_lo:[0,1] neg_hi:[0,1]
	v_pk_add_f32 v[16:17], v[16:17], v[2:3]
	v_pk_add_f32 v[72:73], v[18:19], v[124:125]
	v_pk_mul_f32 v[18:19], v[122:123], s[28:29] op_sel_hi:[1,0]
	v_pk_mul_f32 v[2:3], v[254:255], v[62:63]
	s_mov_b32 s15, s24
	v_pk_fma_f32 v[38:39], v[198:199], v[62:63], v[2:3] op_sel:[0,0,1] op_sel_hi:[1,1,0]
	v_pk_fma_f32 v[40:41], v[198:199], v[62:63], v[2:3] op_sel:[0,0,1] op_sel_hi:[1,1,0] neg_lo:[0,0,1] neg_hi:[0,0,1]
	v_pk_fma_f32 v[2:3], v[72:73], s[26:27], v[18:19] op_sel:[0,0,1] op_sel_hi:[1,0,0]
	v_pk_fma_f32 v[62:63], v[72:73], s[26:27], v[18:19] op_sel:[0,0,1] op_sel_hi:[1,0,0] neg_lo:[0,0,1] neg_hi:[0,0,1]
	v_mov_b32_e32 v18, v2
	v_mov_b32_e32 v19, v63
	v_pk_add_f32 v[124:125], v[18:19], v[16:17]
	v_mov_b32_e32 v18, v86
	v_mov_b32_e32 v19, v88
	;; [unrolled: 1-line block ×4, first 2 shown]
	v_pk_add_f32 v[18:19], v[60:61], v[18:19]
	v_pk_add_f32 v[126:127], v[86:87], v[38:39]
	;; [unrolled: 1-line block ×3, first 2 shown]
	v_mov_b32_e32 v18, v80
	v_mov_b32_e32 v19, v65
	v_pk_add_f32 v[16:17], v[16:17], v[18:19]
	v_mov_b32_e32 v18, v84
	v_mov_b32_e32 v19, v83
	v_pk_add_f32 v[16:17], v[16:17], v[18:19]
	;; [unrolled: 3-line block ×8, first 2 shown]
	v_pk_add_f32 v[16:17], v[86:87], v[38:39] neg_lo:[0,1] neg_hi:[0,1]
	v_pk_add_f32 v[86:87], v[88:89], v[40:41] op_sel:[0,1] neg_lo:[0,1] neg_hi:[0,1]
	v_mov_b32_e32 v127, v16
	v_pk_add_f32 v[16:17], v[88:89], v[40:41] op_sel_hi:[0,1]
	v_pk_add_f32 v[88:89], v[118:119], v[24:25]
	v_pk_add_f32 v[18:19], v[118:119], v[24:25] neg_lo:[0,1] neg_hi:[0,1]
	v_mov_b32_e32 v16, v86
	s_mov_b32 s25, s14
	v_pk_mul_f32 v[38:39], v[126:127], s[14:15]
	v_mov_b32_e32 v89, v18
	v_pk_add_f32 v[118:119], v[116:117], v[28:29] neg_lo:[0,1] neg_hi:[0,1]
	v_pk_add_f32 v[18:19], v[116:117], v[28:29]
	s_mov_b32 s9, s38
	v_pk_fma_f32 v[24:25], v[86:87], s[24:25], v[38:39] neg_lo:[1,0,0] neg_hi:[1,0,0]
	v_pk_fma_f32 v[40:41], v[16:17], s[24:25], v[38:39]
	v_mov_b32_e32 v18, v119
	s_mov_b32 s39, s8
	v_pk_mul_f32 v[54:55], v[88:89], s[8:9]
	v_mov_b32_e32 v25, v41
	s_waitcnt lgkmcnt(0)
	; wave barrier
	ds_write2_b64 v186, v[98:99], v[114:115] offset1:51
	v_pk_fma_f32 v[28:29], v[118:119], s[38:39], v[54:55] op_sel:[1,0,0] neg_lo:[1,0,0] neg_hi:[1,0,0]
	v_pk_fma_f32 v[98:99], v[18:19], s[38:39], v[54:55]
	v_pk_add_f32 v[24:25], v[60:61], v[24:25]
	v_mov_b32_e32 v29, v99
	v_pk_add_f32 v[42:43], v[28:29], v[24:25]
	v_pk_add_f32 v[28:29], v[80:81], v[30:31]
	v_pk_add_f32 v[24:25], v[80:81], v[30:31] neg_lo:[0,1] neg_hi:[0,1]
	v_pk_add_f32 v[30:31], v[64:65], v[32:33] neg_lo:[0,1] neg_hi:[0,1]
	v_mov_b32_e32 v29, v24
	v_pk_add_f32 v[24:25], v[64:65], v[32:33]
	s_mov_b32 s17, s18
	v_mov_b32_e32 v24, v31
	s_mov_b32 s19, s16
	v_pk_mul_f32 v[80:81], v[28:29], s[16:17]
	s_mov_b32 s21, s22
	v_pk_fma_f32 v[32:33], v[30:31], s[18:19], v[80:81] op_sel:[1,0,0] neg_lo:[1,0,0] neg_hi:[1,0,0]
	v_pk_fma_f32 v[114:115], v[24:25], s[18:19], v[80:81]
	s_mov_b32 s23, s20
	v_mov_b32_e32 v33, v115
	v_pk_add_f32 v[42:43], v[32:33], v[42:43]
	v_pk_add_f32 v[32:33], v[84:85], v[34:35]
	v_pk_add_f32 v[34:35], v[84:85], v[34:35] neg_lo:[0,1] neg_hi:[0,1]
	ds_write2_b64 v186, v[68:69], v[106:107] offset0:102 offset1:153
	v_mov_b32_e32 v33, v34
	v_pk_add_f32 v[34:35], v[82:83], v[26:27] neg_lo:[0,1] neg_hi:[0,1]
	v_pk_add_f32 v[26:27], v[82:83], v[26:27]
	v_pk_mul_f32 v[68:69], v[32:33], s[20:21]
	v_mov_b32_e32 v26, v35
	v_pk_fma_f32 v[44:45], v[34:35], s[22:23], v[68:69] op_sel:[1,0,0] neg_lo:[1,0,0] neg_hi:[1,0,0]
	v_pk_fma_f32 v[82:83], v[26:27], s[22:23], v[68:69]
	s_mov_b32 s27, s28
	v_mov_b32_e32 v45, v83
	v_pk_add_f32 v[44:45], v[44:45], v[42:43]
	v_pk_add_f32 v[42:43], v[132:133], v[22:23]
	v_pk_add_f32 v[22:23], v[132:133], v[22:23] neg_lo:[0,1] neg_hi:[0,1]
	ds_write2_b64 v186, v[90:91], v[110:111] offset0:204 offset1:255
	v_mov_b32_e32 v43, v22
	v_pk_add_f32 v[22:23], v[130:131], v[20:21] neg_lo:[0,1] neg_hi:[0,1]
	v_pk_add_f32 v[20:21], v[130:131], v[20:21]
	ds_write2_b64 v53, v[94:95], v[100:101] offset0:50 offset1:101
	ds_write2_b64 v53, v[102:103], v[108:109] offset0:152 offset1:203
	;; [unrolled: 1-line block ×3, first 2 shown]
	v_pk_fma_f32 v[36:37], v[16:17], s[24:25], v[38:39] neg_lo:[0,0,1] neg_hi:[0,0,1]
	v_pk_fma_f32 v[38:39], v[18:19], s[38:39], v[54:55] neg_lo:[0,0,1] neg_hi:[0,0,1]
	v_mov_b32_e32 v20, v23
	s_mov_b32 s29, s26
	v_pk_mul_f32 v[84:85], v[42:43], s[26:27]
	v_mov_b32_e32 v99, v39
	v_pk_fma_f32 v[38:39], v[24:25], s[18:19], v[80:81] neg_lo:[0,0,1] neg_hi:[0,0,1]
	v_pk_fma_f32 v[64:65], v[22:23], s[28:29], v[84:85] op_sel:[1,0,0] neg_lo:[1,0,0] neg_hi:[1,0,0]
	v_pk_fma_f32 v[90:91], v[20:21], s[28:29], v[84:85]
	v_mov_b32_e32 v41, v37
	v_mov_b32_e32 v115, v39
	v_pk_fma_f32 v[38:39], v[26:27], s[22:23], v[68:69] neg_lo:[0,0,1] neg_hi:[0,0,1]
	v_mov_b32_e32 v65, v91
	v_pk_add_f32 v[36:37], v[60:61], v[40:41]
	v_mov_b32_e32 v83, v39
	v_pk_fma_f32 v[38:39], v[20:21], s[28:29], v[84:85] neg_lo:[0,0,1] neg_hi:[0,0,1]
	v_pk_add_f32 v[44:45], v[64:65], v[44:45]
	v_mov_b32_e32 v64, s10
	v_mov_b32_e32 v65, s11
	v_pk_add_f32 v[36:37], v[98:99], v[36:37]
	v_mov_b32_e32 v91, v39
	v_pk_mul_f32 v[38:39], v[126:127], s[26:27]
	s_mov_b32 s10, s14
	s_mov_b32 s11, s30
	v_pk_add_f32 v[36:37], v[114:115], v[36:37]
	v_pk_fma_f32 v[40:41], v[86:87], s[28:29], v[38:39] neg_lo:[1,0,0] neg_hi:[1,0,0]
	v_pk_fma_f32 v[54:55], v[16:17], s[28:29], v[38:39]
	s_mov_b32 s31, s14
	v_pk_mul_f32 v[68:69], v[88:89], s[10:11]
	v_pk_add_f32 v[36:37], v[82:83], v[36:37]
	v_mov_b32_e32 v41, v55
	v_pk_fma_f32 v[80:81], v[118:119], s[30:31], v[68:69] op_sel:[1,0,0] neg_lo:[1,0,0] neg_hi:[1,0,0]
	v_pk_fma_f32 v[82:83], v[18:19], s[30:31], v[68:69]
	v_pk_add_f32 v[40:41], v[60:61], v[40:41]
	v_mov_b32_e32 v81, v83
	v_pk_add_f32 v[40:41], v[80:81], v[40:41]
	v_pk_mul_f32 v[80:81], v[28:29], s[20:21]
	v_pk_add_f32 v[36:37], v[90:91], v[36:37]
	v_pk_fma_f32 v[84:85], v[30:31], s[22:23], v[80:81] op_sel:[1,0,0] neg_lo:[1,0,0] neg_hi:[1,0,0]
	v_pk_fma_f32 v[90:91], v[24:25], s[22:23], v[80:81]
	v_pk_fma_f32 v[38:39], v[16:17], s[28:29], v[38:39] neg_lo:[0,0,1] neg_hi:[0,0,1]
	v_mov_b32_e32 v85, v91
	v_pk_add_f32 v[40:41], v[84:85], v[40:41]
	s_mov_b32 s35, s8
	v_pk_mul_f32 v[84:85], v[32:33], s[44:45]
	v_mov_b32_e32 v55, v39
	v_pk_fma_f32 v[94:95], v[34:35], s[34:35], v[84:85] op_sel:[1,0,0] neg_lo:[1,0,0] neg_hi:[1,0,0]
	v_pk_fma_f32 v[98:99], v[26:27], s[34:35], v[84:85]
	v_pk_add_f32 v[38:39], v[60:61], v[54:55]
	v_pk_fma_f32 v[54:55], v[18:19], s[30:31], v[68:69] neg_lo:[0,0,1] neg_hi:[0,0,1]
	v_mov_b32_e32 v95, v99
	v_mov_b32_e32 v83, v55
	v_pk_fma_f32 v[54:55], v[24:25], s[22:23], v[80:81] neg_lo:[0,0,1] neg_hi:[0,0,1]
	v_pk_add_f32 v[40:41], v[94:95], v[40:41]
	v_pk_mul_f32 v[94:95], v[42:43], s[16:17]
	v_pk_add_f32 v[38:39], v[82:83], v[38:39]
	v_mov_b32_e32 v91, v55
	v_pk_fma_f32 v[54:55], v[26:27], s[34:35], v[84:85] neg_lo:[0,0,1] neg_hi:[0,0,1]
	v_pk_fma_f32 v[100:101], v[22:23], s[18:19], v[94:95] op_sel:[1,0,0] neg_lo:[1,0,0] neg_hi:[1,0,0]
	v_pk_fma_f32 v[102:103], v[20:21], s[18:19], v[94:95]
	v_pk_add_f32 v[38:39], v[90:91], v[38:39]
	v_mov_b32_e32 v99, v55
	v_pk_fma_f32 v[54:55], v[20:21], s[18:19], v[94:95] neg_lo:[0,0,1] neg_hi:[0,0,1]
	v_mov_b32_e32 v101, v103
	v_pk_add_f32 v[38:39], v[98:99], v[38:39]
	v_mov_b32_e32 v103, v55
	v_pk_add_f32 v[40:41], v[100:101], v[40:41]
	v_pk_add_f32 v[38:39], v[102:103], v[38:39]
	ds_write2_b64 v47, v[38:39], v[40:41] offset0:48 offset1:99
	v_pk_mul_f32 v[38:39], v[126:127], s[20:21]
	s_mov_b32 s37, s16
	v_pk_fma_f32 v[40:41], v[86:87], s[22:23], v[38:39] neg_lo:[1,0,0] neg_hi:[1,0,0]
	v_pk_fma_f32 v[54:55], v[16:17], s[22:23], v[38:39]
	v_pk_mul_f32 v[68:69], v[88:89], s[42:43]
	v_mov_b32_e32 v41, v55
	v_pk_fma_f32 v[80:81], v[118:119], s[36:37], v[68:69] op_sel:[1,0,0] neg_lo:[1,0,0] neg_hi:[1,0,0]
	v_pk_fma_f32 v[82:83], v[18:19], s[36:37], v[68:69]
	v_pk_add_f32 v[40:41], v[60:61], v[40:41]
	v_mov_b32_e32 v81, v83
	v_pk_add_f32 v[40:41], v[80:81], v[40:41]
	v_pk_mul_f32 v[80:81], v[28:29], s[14:15]
	v_pk_fma_f32 v[38:39], v[16:17], s[22:23], v[38:39] neg_lo:[0,0,1] neg_hi:[0,0,1]
	v_pk_fma_f32 v[84:85], v[30:31], s[24:25], v[80:81] op_sel:[1,0,0] neg_lo:[1,0,0] neg_hi:[1,0,0]
	v_pk_fma_f32 v[90:91], v[24:25], s[24:25], v[80:81]
	v_mov_b32_e32 v55, v39
	v_mov_b32_e32 v85, v91
	v_pk_add_f32 v[40:41], v[84:85], v[40:41]
	v_pk_mul_f32 v[84:85], v[32:33], s[26:27]
	v_pk_add_f32 v[38:39], v[60:61], v[54:55]
	v_pk_fma_f32 v[94:95], v[34:35], s[28:29], v[84:85] op_sel:[1,0,0] neg_lo:[1,0,0] neg_hi:[1,0,0]
	v_pk_fma_f32 v[98:99], v[26:27], s[28:29], v[84:85]
	v_pk_fma_f32 v[54:55], v[18:19], s[36:37], v[68:69] neg_lo:[0,0,1] neg_hi:[0,0,1]
	v_mov_b32_e32 v95, v99
	v_mov_b32_e32 v83, v55
	v_pk_fma_f32 v[54:55], v[24:25], s[24:25], v[80:81] neg_lo:[0,0,1] neg_hi:[0,0,1]
	v_pk_add_f32 v[40:41], v[94:95], v[40:41]
	v_pk_mul_f32 v[94:95], v[42:43], s[44:45]
	v_mov_b32_e32 v91, v55
	v_pk_fma_f32 v[54:55], v[26:27], s[28:29], v[84:85] neg_lo:[0,0,1] neg_hi:[0,0,1]
	v_pk_fma_f32 v[100:101], v[22:23], s[34:35], v[94:95] op_sel:[1,0,0] neg_lo:[1,0,0] neg_hi:[1,0,0]
	v_pk_fma_f32 v[102:103], v[20:21], s[34:35], v[94:95]
	v_mov_b32_e32 v99, v55
	v_pk_fma_f32 v[54:55], v[20:21], s[34:35], v[94:95] neg_lo:[0,0,1] neg_hi:[0,0,1]
	v_mov_b32_e32 v101, v103
	v_mov_b32_e32 v103, v55
	v_pk_mul_f32 v[54:55], v[126:127], s[16:17]
	s_mov_b32 s27, s40
	v_pk_add_f32 v[38:39], v[82:83], v[38:39]
	v_pk_fma_f32 v[68:69], v[86:87], s[18:19], v[54:55] neg_lo:[1,0,0] neg_hi:[1,0,0]
	v_pk_fma_f32 v[80:81], v[16:17], s[18:19], v[54:55]
	s_mov_b32 s41, s26
	v_pk_mul_f32 v[82:83], v[88:89], s[26:27]
	v_pk_add_f32 v[38:39], v[90:91], v[38:39]
	v_mov_b32_e32 v69, v81
	v_pk_fma_f32 v[84:85], v[118:119], s[40:41], v[82:83] op_sel:[1,0,0] neg_lo:[1,0,0] neg_hi:[1,0,0]
	v_pk_fma_f32 v[90:91], v[18:19], s[40:41], v[82:83]
	v_pk_add_f32 v[68:69], v[60:61], v[68:69]
	v_mov_b32_e32 v85, v91
	v_pk_add_f32 v[68:69], v[84:85], v[68:69]
	v_pk_mul_f32 v[84:85], v[28:29], s[44:45]
	v_pk_add_f32 v[38:39], v[98:99], v[38:39]
	v_pk_fma_f32 v[94:95], v[30:31], s[34:35], v[84:85] op_sel:[1,0,0] neg_lo:[1,0,0] neg_hi:[1,0,0]
	v_pk_fma_f32 v[98:99], v[24:25], s[34:35], v[84:85]
	v_pk_fma_f32 v[54:55], v[16:17], s[18:19], v[54:55] neg_lo:[0,0,1] neg_hi:[0,0,1]
	v_mov_b32_e32 v95, v99
	v_pk_add_f32 v[68:69], v[94:95], v[68:69]
	v_pk_mul_f32 v[94:95], v[32:33], s[14:15]
	v_mov_b32_e32 v81, v55
	v_pk_add_f32 v[40:41], v[100:101], v[40:41]
	v_pk_add_f32 v[38:39], v[102:103], v[38:39]
	v_pk_fma_f32 v[100:101], v[34:35], s[24:25], v[94:95] op_sel:[1,0,0] neg_lo:[1,0,0] neg_hi:[1,0,0]
	v_pk_fma_f32 v[102:103], v[26:27], s[24:25], v[94:95]
	v_pk_add_f32 v[54:55], v[60:61], v[80:81]
	v_pk_fma_f32 v[80:81], v[18:19], s[40:41], v[82:83] neg_lo:[0,0,1] neg_hi:[0,0,1]
	v_mov_b32_e32 v101, v103
	v_mov_b32_e32 v91, v81
	v_pk_fma_f32 v[80:81], v[24:25], s[34:35], v[84:85] neg_lo:[0,0,1] neg_hi:[0,0,1]
	v_pk_add_f32 v[68:69], v[100:101], v[68:69]
	v_pk_mul_f32 v[100:101], v[42:43], s[20:21]
	v_pk_add_f32 v[54:55], v[90:91], v[54:55]
	v_mov_b32_e32 v99, v81
	v_pk_fma_f32 v[80:81], v[26:27], s[24:25], v[94:95] neg_lo:[0,0,1] neg_hi:[0,0,1]
	v_pk_fma_f32 v[106:107], v[22:23], s[22:23], v[100:101] op_sel:[1,0,0] neg_lo:[1,0,0] neg_hi:[1,0,0]
	v_pk_fma_f32 v[108:109], v[20:21], s[22:23], v[100:101]
	v_pk_add_f32 v[54:55], v[98:99], v[54:55]
	v_mov_b32_e32 v103, v81
	v_pk_fma_f32 v[80:81], v[20:21], s[22:23], v[100:101] neg_lo:[0,0,1] neg_hi:[0,0,1]
	v_mov_b32_e32 v107, v109
	v_pk_add_f32 v[54:55], v[102:103], v[54:55]
	v_mov_b32_e32 v109, v81
	v_pk_add_f32 v[54:55], v[108:109], v[54:55]
	v_pk_add_f32 v[68:69], v[106:107], v[68:69]
	ds_write2_b64 v49, v[54:55], v[38:39] offset0:202 offset1:253
	ds_write2_b64 v47, v[40:41], v[68:69] offset0:150 offset1:201
	v_pk_mul_f32 v[38:39], v[126:127], s[8:9]
	v_pk_mul_f32 v[68:69], v[88:89], s[20:21]
	v_pk_fma_f32 v[40:41], v[86:87], s[38:39], v[38:39] neg_lo:[1,0,0] neg_hi:[1,0,0]
	v_pk_fma_f32 v[54:55], v[16:17], s[38:39], v[38:39]
	v_pk_fma_f32 v[80:81], v[118:119], s[22:23], v[68:69] op_sel:[1,0,0] neg_lo:[1,0,0] neg_hi:[1,0,0]
	v_mov_b32_e32 v41, v55
	v_pk_fma_f32 v[82:83], v[18:19], s[22:23], v[68:69]
	v_pk_add_f32 v[40:41], v[60:61], v[40:41]
	v_mov_b32_e32 v81, v83
	v_pk_mul_f32 v[28:29], v[28:29], s[26:27]
	v_pk_add_f32 v[40:41], v[80:81], v[40:41]
	v_pk_fma_f32 v[30:31], v[30:31], s[40:41], v[28:29] op_sel:[1,0,0] neg_lo:[1,0,0] neg_hi:[1,0,0]
	v_pk_fma_f32 v[80:81], v[24:25], s[40:41], v[28:29]
	v_pk_mul_f32 v[32:33], v[32:33], s[42:43]
	v_mov_b32_e32 v31, v81
	v_pk_fma_f32 v[16:17], v[16:17], s[38:39], v[38:39] neg_lo:[0,0,1] neg_hi:[0,0,1]
	v_pk_add_f32 v[30:31], v[30:31], v[40:41]
	v_pk_fma_f32 v[34:35], v[34:35], s[36:37], v[32:33] op_sel:[1,0,0] neg_lo:[1,0,0] neg_hi:[1,0,0]
	v_pk_fma_f32 v[40:41], v[26:27], s[36:37], v[32:33]
	v_mov_b32_e32 v55, v17
	v_pk_fma_f32 v[18:19], v[18:19], s[22:23], v[68:69] neg_lo:[0,0,1] neg_hi:[0,0,1]
	v_mov_b32_e32 v35, v41
	v_pk_add_f32 v[16:17], v[60:61], v[54:55]
	v_mov_b32_e32 v83, v19
	v_pk_fma_f32 v[18:19], v[24:25], s[40:41], v[28:29] neg_lo:[0,0,1] neg_hi:[0,0,1]
	v_pk_add_f32 v[30:31], v[34:35], v[30:31]
	v_pk_mul_f32 v[34:35], v[42:43], s[10:11]
	v_pk_add_f32 v[16:17], v[82:83], v[16:17]
	v_mov_b32_e32 v81, v19
	v_pk_fma_f32 v[18:19], v[26:27], s[36:37], v[32:33] neg_lo:[0,0,1] neg_hi:[0,0,1]
	v_pk_fma_f32 v[22:23], v[22:23], s[30:31], v[34:35] op_sel:[1,0,0] neg_lo:[1,0,0] neg_hi:[1,0,0]
	v_pk_fma_f32 v[42:43], v[20:21], s[30:31], v[34:35]
	v_pk_add_f32 v[16:17], v[80:81], v[16:17]
	v_mov_b32_e32 v41, v19
	v_pk_fma_f32 v[18:19], v[20:21], s[30:31], v[34:35] neg_lo:[0,0,1] neg_hi:[0,0,1]
	v_mov_b32_e32 v23, v43
	v_pk_add_f32 v[16:17], v[40:41], v[16:17]
	v_mov_b32_e32 v43, v19
	v_pk_add_f32 v[16:17], v[42:43], v[16:17]
	v_pk_add_f32 v[22:23], v[22:23], v[30:31]
	ds_write2_b64 v49, v[36:37], v[16:17] offset0:100 offset1:151
	ds_write2_b64 v52, v[22:23], v[44:45] offset0:124 offset1:175
	scratch_load_dword v2, off, off         ; 4-byte Folded Reload
	v_pk_mul_f32 v[16:17], v[78:79], s[38:39] op_sel_hi:[1,0]
	v_pk_mul_f32 v[22:23], v[14:15], s[22:23] op_sel_hi:[1,0]
	v_pk_fma_f32 v[18:19], v[74:75], s[8:9], v[16:17] op_sel:[0,0,1] op_sel_hi:[1,0,0]
	v_pk_fma_f32 v[16:17], v[74:75], s[8:9], v[16:17] op_sel:[0,0,1] op_sel_hi:[1,0,0] neg_lo:[0,0,1] neg_hi:[0,0,1]
	v_mov_b32_e32 v20, v18
	v_mov_b32_e32 v21, v17
	v_pk_fma_f32 v[24:25], v[12:13], s[20:21], v[22:23] op_sel:[0,0,1] op_sel_hi:[1,0,0]
	v_pk_fma_f32 v[22:23], v[12:13], s[20:21], v[22:23] op_sel:[0,0,1] op_sel_hi:[1,0,0] neg_lo:[0,0,1] neg_hi:[0,0,1]
	v_pk_add_f32 v[20:21], v[56:57], v[20:21]
	v_mov_b32_e32 v26, v24
	v_mov_b32_e32 v27, v23
	v_pk_add_f32 v[20:21], v[26:27], v[20:21]
	v_pk_mul_f32 v[26:27], v[96:97], s[40:41] op_sel_hi:[1,0]
	v_pk_mul_f32 v[44:45], v[14:15], s[40:41] op_sel_hi:[1,0]
	v_pk_fma_f32 v[28:29], v[76:77], s[26:27], v[26:27] op_sel:[0,0,1] op_sel_hi:[1,0,0]
	v_pk_fma_f32 v[26:27], v[76:77], s[26:27], v[26:27] op_sel:[0,0,1] op_sel_hi:[1,0,0] neg_lo:[0,0,1] neg_hi:[0,0,1]
	v_mov_b32_e32 v30, v28
	v_mov_b32_e32 v31, v27
	v_pk_add_f32 v[20:21], v[30:31], v[20:21]
	v_pk_mul_f32 v[30:31], v[120:121], s[36:37] op_sel_hi:[1,0]
	v_pk_fma_f32 v[54:55], v[12:13], s[26:27], v[44:45] op_sel:[0,0,1] op_sel_hi:[1,0,0]
	v_pk_fma_f32 v[32:33], v[104:105], s[16:17], v[30:31] op_sel:[0,0,1] op_sel_hi:[1,0,0]
	v_pk_fma_f32 v[30:31], v[104:105], s[16:17], v[30:31] op_sel:[0,0,1] op_sel_hi:[1,0,0] neg_lo:[0,0,1] neg_hi:[0,0,1]
	v_mov_b32_e32 v34, v32
	v_mov_b32_e32 v35, v31
	v_pk_add_f32 v[20:21], v[34:35], v[20:21]
	v_pk_mul_f32 v[34:35], v[122:123], s[30:31] op_sel_hi:[1,0]
	v_pk_fma_f32 v[44:45], v[12:13], s[26:27], v[44:45] op_sel:[0,0,1] op_sel_hi:[1,0,0] neg_lo:[0,0,1] neg_hi:[0,0,1]
	v_pk_fma_f32 v[36:37], v[72:73], s[14:15], v[34:35] op_sel:[0,0,1] op_sel_hi:[1,0,0]
	v_pk_fma_f32 v[34:35], v[72:73], s[14:15], v[34:35] op_sel:[0,0,1] op_sel_hi:[1,0,0] neg_lo:[0,0,1] neg_hi:[0,0,1]
	v_mov_b32_e32 v38, v36
	v_mov_b32_e32 v39, v35
	v_pk_add_f32 v[20:21], v[38:39], v[20:21]
	v_pk_mul_f32 v[38:39], v[78:79], s[18:19] op_sel_hi:[1,0]
	v_mov_b32_e32 v60, v54
	v_pk_fma_f32 v[40:41], v[74:75], s[16:17], v[38:39] op_sel:[0,0,1] op_sel_hi:[1,0,0]
	v_pk_fma_f32 v[38:39], v[74:75], s[16:17], v[38:39] op_sel:[0,0,1] op_sel_hi:[1,0,0] neg_lo:[0,0,1] neg_hi:[0,0,1]
	v_mov_b32_e32 v42, v40
	v_mov_b32_e32 v43, v39
	v_pk_add_f32 v[42:43], v[56:57], v[42:43]
	v_mov_b32_e32 v61, v45
	v_pk_add_f32 v[42:43], v[60:61], v[42:43]
	v_pk_mul_f32 v[60:61], v[96:97], s[34:35] op_sel_hi:[1,0]
	v_pk_mul_f32 v[90:91], v[14:15], s[36:37] op_sel_hi:[1,0]
	v_pk_fma_f32 v[68:69], v[76:77], s[8:9], v[60:61] op_sel:[0,0,1] op_sel_hi:[1,0,0]
	v_pk_fma_f32 v[60:61], v[76:77], s[8:9], v[60:61] op_sel:[0,0,1] op_sel_hi:[1,0,0] neg_lo:[0,0,1] neg_hi:[0,0,1]
	v_mov_b32_e32 v80, v68
	v_mov_b32_e32 v81, v61
	v_pk_add_f32 v[42:43], v[80:81], v[42:43]
	v_pk_mul_f32 v[80:81], v[120:121], s[24:25] op_sel_hi:[1,0]
	v_pk_mul_f32 v[14:15], v[14:15], s[30:31] op_sel_hi:[1,0]
	v_pk_fma_f32 v[82:83], v[104:105], s[14:15], v[80:81] op_sel:[0,0,1] op_sel_hi:[1,0,0]
	v_pk_fma_f32 v[80:81], v[104:105], s[14:15], v[80:81] op_sel:[0,0,1] op_sel_hi:[1,0,0] neg_lo:[0,0,1] neg_hi:[0,0,1]
	v_mov_b32_e32 v84, v82
	v_mov_b32_e32 v85, v81
	v_pk_add_f32 v[42:43], v[84:85], v[42:43]
	v_pk_mul_f32 v[84:85], v[122:123], s[22:23] op_sel_hi:[1,0]
	v_pk_fma_f32 v[112:113], v[12:13], s[14:15], v[14:15] op_sel:[0,0,1] op_sel_hi:[1,0,0]
	v_pk_fma_f32 v[86:87], v[72:73], s[20:21], v[84:85] op_sel:[0,0,1] op_sel_hi:[1,0,0]
	v_pk_fma_f32 v[84:85], v[72:73], s[20:21], v[84:85] op_sel:[0,0,1] op_sel_hi:[1,0,0] neg_lo:[0,0,1] neg_hi:[0,0,1]
	v_mov_b32_e32 v88, v86
	v_mov_b32_e32 v89, v85
	v_pk_add_f32 v[42:43], v[88:89], v[42:43]
	v_mov_b32_e32 v39, v41
	v_mov_b32_e32 v17, v19
	;; [unrolled: 1-line block ×9, first 2 shown]
	v_pk_add_f32 v[8:9], v[56:57], v[58:59]
	v_mov_b32_e32 v11, v5
	v_mov_b32_e32 v85, v87
	;; [unrolled: 1-line block ×3, first 2 shown]
	v_pk_add_f32 v[4:5], v[10:11], v[8:9]
	v_mov_b32_e32 v67, v7
	v_pk_add_f32 v[4:5], v[66:67], v[4:5]
	s_waitcnt vmcnt(0)
	v_add_u32_e32 v0, 0x2000, v2
	ds_write2_b64 v0, v[20:21], v[42:43] offset0:200 offset1:251
	v_pk_mul_f32 v[20:21], v[78:79], s[22:23] op_sel_hi:[1,0]
	ds_write2_b64 v0, v[92:93], v[124:125] offset0:98 offset1:149
	v_pk_fma_f32 v[42:43], v[74:75], s[20:21], v[20:21] op_sel:[0,0,1] op_sel_hi:[1,0,0]
	v_pk_fma_f32 v[20:21], v[74:75], s[20:21], v[20:21] op_sel:[0,0,1] op_sel_hi:[1,0,0] neg_lo:[0,0,1] neg_hi:[0,0,1]
	v_mov_b32_e32 v88, v42
	v_mov_b32_e32 v89, v21
	v_pk_fma_f32 v[92:93], v[12:13], s[16:17], v[90:91] op_sel:[0,0,1] op_sel_hi:[1,0,0]
	v_pk_fma_f32 v[90:91], v[12:13], s[16:17], v[90:91] op_sel:[0,0,1] op_sel_hi:[1,0,0] neg_lo:[0,0,1] neg_hi:[0,0,1]
	v_pk_add_f32 v[88:89], v[56:57], v[88:89]
	v_mov_b32_e32 v94, v92
	v_mov_b32_e32 v95, v91
	v_pk_add_f32 v[88:89], v[94:95], v[88:89]
	v_pk_mul_f32 v[94:95], v[96:97], s[24:25] op_sel_hi:[1,0]
	v_pk_mul_f32 v[78:79], v[78:79], s[28:29] op_sel_hi:[1,0]
	v_pk_fma_f32 v[98:99], v[76:77], s[14:15], v[94:95] op_sel:[0,0,1] op_sel_hi:[1,0,0]
	v_pk_fma_f32 v[94:95], v[76:77], s[14:15], v[94:95] op_sel:[0,0,1] op_sel_hi:[1,0,0] neg_lo:[0,0,1] neg_hi:[0,0,1]
	v_mov_b32_e32 v100, v98
	v_mov_b32_e32 v101, v95
	v_pk_add_f32 v[88:89], v[100:101], v[88:89]
	v_pk_mul_f32 v[100:101], v[120:121], s[28:29] op_sel_hi:[1,0]
	v_pk_fma_f32 v[12:13], v[12:13], s[14:15], v[14:15] op_sel:[0,0,1] op_sel_hi:[1,0,0] neg_lo:[0,0,1] neg_hi:[0,0,1]
	v_pk_fma_f32 v[102:103], v[104:105], s[26:27], v[100:101] op_sel:[0,0,1] op_sel_hi:[1,0,0]
	v_pk_fma_f32 v[100:101], v[104:105], s[26:27], v[100:101] op_sel:[0,0,1] op_sel_hi:[1,0,0] neg_lo:[0,0,1] neg_hi:[0,0,1]
	v_mov_b32_e32 v106, v102
	v_mov_b32_e32 v107, v101
	v_pk_add_f32 v[88:89], v[106:107], v[88:89]
	v_pk_mul_f32 v[106:107], v[122:123], s[34:35] op_sel_hi:[1,0]
	v_mov_b32_e32 v14, v112
	v_pk_fma_f32 v[108:109], v[72:73], s[8:9], v[106:107] op_sel:[0,0,1] op_sel_hi:[1,0,0]
	v_pk_fma_f32 v[106:107], v[72:73], s[8:9], v[106:107] op_sel:[0,0,1] op_sel_hi:[1,0,0] neg_lo:[0,0,1] neg_hi:[0,0,1]
	v_mov_b32_e32 v110, v108
	v_mov_b32_e32 v111, v107
	v_pk_add_f32 v[88:89], v[110:111], v[88:89]
	v_pk_fma_f32 v[110:111], v[74:75], s[26:27], v[78:79] op_sel:[0,0,1] op_sel_hi:[1,0,0]
	v_pk_fma_f32 v[74:75], v[74:75], s[26:27], v[78:79] op_sel:[0,0,1] op_sel_hi:[1,0,0] neg_lo:[0,0,1] neg_hi:[0,0,1]
	v_mov_b32_e32 v78, v110
	v_mov_b32_e32 v79, v75
	v_pk_add_f32 v[78:79], v[56:57], v[78:79]
	v_mov_b32_e32 v15, v13
	v_pk_add_f32 v[14:15], v[14:15], v[78:79]
	v_pk_mul_f32 v[78:79], v[96:97], s[22:23] op_sel_hi:[1,0]
	v_add_u32_e32 v0, 0x2800, v2
	v_pk_fma_f32 v[96:97], v[76:77], s[20:21], v[78:79] op_sel:[0,0,1] op_sel_hi:[1,0,0]
	v_pk_fma_f32 v[76:77], v[76:77], s[20:21], v[78:79] op_sel:[0,0,1] op_sel_hi:[1,0,0] neg_lo:[0,0,1] neg_hi:[0,0,1]
	v_mov_b32_e32 v78, v96
	v_mov_b32_e32 v79, v77
	v_pk_add_f32 v[14:15], v[78:79], v[14:15]
	v_pk_mul_f32 v[78:79], v[120:121], s[34:35] op_sel_hi:[1,0]
	v_mov_b32_e32 v75, v111
	v_pk_fma_f32 v[114:115], v[104:105], s[8:9], v[78:79] op_sel:[0,0,1] op_sel_hi:[1,0,0]
	v_pk_fma_f32 v[78:79], v[104:105], s[8:9], v[78:79] op_sel:[0,0,1] op_sel_hi:[1,0,0] neg_lo:[0,0,1] neg_hi:[0,0,1]
	v_mov_b32_e32 v104, v114
	v_mov_b32_e32 v105, v79
	v_pk_add_f32 v[14:15], v[104:105], v[14:15]
	v_pk_mul_f32 v[104:105], v[122:123], s[18:19] op_sel_hi:[1,0]
	v_mov_b32_e32 v13, v113
	v_pk_fma_f32 v[116:117], v[72:73], s[16:17], v[104:105] op_sel:[0,0,1] op_sel_hi:[1,0,0]
	v_pk_fma_f32 v[72:73], v[72:73], s[16:17], v[104:105] op_sel:[0,0,1] op_sel_hi:[1,0,0] neg_lo:[0,0,1] neg_hi:[0,0,1]
	v_mov_b32_e32 v104, v116
	v_mov_b32_e32 v105, v73
	v_pk_add_f32 v[14:15], v[104:105], v[14:15]
	ds_write2_b64 v0, v[88:89], v[14:15] offset0:46 offset1:97
	v_pk_add_f32 v[14:15], v[56:57], v[74:75]
	v_mov_b32_e32 v21, v43
	v_pk_add_f32 v[12:13], v[12:13], v[14:15]
	v_pk_add_f32 v[14:15], v[56:57], v[20:21]
	v_mov_b32_e32 v91, v93
	v_mov_b32_e32 v77, v97
	v_pk_add_f32 v[14:15], v[90:91], v[14:15]
	v_mov_b32_e32 v95, v99
	v_pk_add_f32 v[12:13], v[76:77], v[12:13]
	v_mov_b32_e32 v79, v115
	v_pk_add_f32 v[14:15], v[94:95], v[14:15]
	v_mov_b32_e32 v101, v103
	v_pk_add_f32 v[12:13], v[78:79], v[12:13]
	v_mov_b32_e32 v73, v117
	v_pk_add_f32 v[14:15], v[100:101], v[14:15]
	v_mov_b32_e32 v107, v109
	v_pk_add_f32 v[12:13], v[72:73], v[12:13]
	v_pk_add_f32 v[14:15], v[106:107], v[14:15]
	ds_write2_b64 v0, v[12:13], v[14:15] offset0:148 offset1:199
	v_pk_add_f32 v[12:13], v[56:57], v[38:39]
	v_pk_add_f32 v[14:15], v[56:57], v[16:17]
	;; [unrolled: 1-line block ×10, first 2 shown]
	v_add_u32_e32 v0, 0x2c00, v2
	v_mov_b32_e32 v71, v1
	ds_write2_b64 v0, v[12:13], v[14:15] offset0:122 offset1:173
	v_pk_add_f32 v[0:1], v[70:71], v[4:5]
	v_mov_b32_e32 v63, v3
	v_pk_add_f32 v[0:1], v[62:63], v[0:1]
	ds_write_b64 v2, v[0:1] offset:13056
	s_waitcnt lgkmcnt(0)
	; wave barrier
	s_waitcnt lgkmcnt(0)
	ds_read2_b64 v[0:3], v50 offset0:126 offset1:177
	ds_read2_b64 v[8:11], v186 offset1:51
	ds_read2_b64 v[12:15], v48 offset0:98 offset1:149
	v_accvgpr_read_b32 v16, a86
	v_accvgpr_read_b32 v17, a87
	;; [unrolled: 1-line block ×3, first 2 shown]
	s_waitcnt lgkmcnt(2)
	v_pk_mul_f32 v[16:17], v[16:17], v[2:3]
	v_accvgpr_read_b32 v21, a199
	v_accvgpr_read_b32 v18, a88
	;; [unrolled: 1-line block ×3, first 2 shown]
	v_pk_fma_f32 v[36:37], v[20:21], v[2:3], v[16:17] op_sel:[0,0,1] op_sel_hi:[1,1,0]
	v_pk_fma_f32 v[2:3], v[20:21], v[2:3], v[16:17] op_sel:[0,0,1] op_sel_hi:[1,1,0] neg_lo:[0,0,1] neg_hi:[0,0,1]
	v_accvgpr_read_b32 v20, a196
	v_mov_b32_e32 v37, v3
	s_waitcnt lgkmcnt(0)
	v_pk_mul_f32 v[2:3], v[18:19], v[12:13]
	ds_read2_b64 v[16:19], v49 offset0:100 offset1:151
	v_accvgpr_read_b32 v21, a197
	v_pk_fma_f32 v[38:39], v[20:21], v[12:13], v[2:3] op_sel:[0,0,1] op_sel_hi:[1,1,0]
	v_pk_fma_f32 v[2:3], v[20:21], v[12:13], v[2:3] op_sel:[0,0,1] op_sel_hi:[1,1,0] neg_lo:[0,0,1] neg_hi:[0,0,1]
	v_accvgpr_read_b32 v20, a200
	s_waitcnt lgkmcnt(0)
	v_pk_mul_f32 v[12:13], v[200:201], v[16:17]
	v_accvgpr_read_b32 v21, a201
	v_pk_fma_f32 v[40:41], v[20:21], v[16:17], v[12:13] op_sel:[0,0,1] op_sel_hi:[1,1,0]
	v_pk_fma_f32 v[12:13], v[20:21], v[16:17], v[12:13] op_sel:[0,0,1] op_sel_hi:[1,1,0] neg_lo:[0,0,1] neg_hi:[0,0,1]
	v_accvgpr_read_b32 v16, a202
	v_mov_b32_e32 v41, v13
	v_pk_mul_f32 v[12:13], v[202:203], v[14:15]
	v_accvgpr_read_b32 v17, a203
	v_pk_fma_f32 v[42:43], v[16:17], v[14:15], v[12:13] op_sel:[0,0,1] op_sel_hi:[1,1,0]
	v_pk_fma_f32 v[12:13], v[16:17], v[14:15], v[12:13] op_sel:[0,0,1] op_sel_hi:[1,1,0] neg_lo:[0,0,1] neg_hi:[0,0,1]
	v_accvgpr_read_b32 v24, a90
	v_mov_b32_e32 v43, v13
	v_pk_add_f32 v[12:13], v[10:11], v[40:41]
	v_accvgpr_read_b32 v25, a91
	v_pk_add_f32 v[44:45], v[12:13], v[42:43]
	ds_read2_b64 v[12:15], v186 offset0:102 offset1:153
	ds_read2_b64 v[20:23], v48 offset0:200 offset1:251
	v_pk_mul_f32 v[16:17], v[24:25], v[18:19]
	v_accvgpr_read_b32 v24, a206
	v_accvgpr_read_b32 v25, a207
	v_pk_fma_f32 v[54:55], v[24:25], v[18:19], v[16:17] op_sel:[0,0,1] op_sel_hi:[1,1,0]
	v_pk_fma_f32 v[16:17], v[24:25], v[18:19], v[16:17] op_sel:[0,0,1] op_sel_hi:[1,1,0] neg_lo:[0,0,1] neg_hi:[0,0,1]
	v_accvgpr_read_b32 v26, a92
	v_accvgpr_read_b32 v27, a93
	v_mov_b32_e32 v55, v17
	ds_read2_b64 v[16:19], v49 offset0:202 offset1:253
	s_waitcnt lgkmcnt(1)
	v_pk_mul_f32 v[24:25], v[26:27], v[20:21]
	v_accvgpr_read_b32 v26, a204
	v_accvgpr_read_b32 v27, a205
	v_pk_fma_f32 v[56:57], v[26:27], v[20:21], v[24:25] op_sel:[0,0,1] op_sel_hi:[1,1,0]
	v_pk_fma_f32 v[20:21], v[26:27], v[20:21], v[24:25] op_sel:[0,0,1] op_sel_hi:[1,1,0] neg_lo:[0,0,1] neg_hi:[0,0,1]
	v_accvgpr_read_b32 v24, a208
	v_mov_b32_e32 v57, v21
	v_pk_add_f32 v[20:21], v[12:13], v[54:55]
	v_accvgpr_read_b32 v25, a209
	v_pk_add_f32 v[58:59], v[20:21], v[56:57]
	s_waitcnt lgkmcnt(0)
	v_pk_mul_f32 v[20:21], v[240:241], v[16:17]
	v_accvgpr_read_b32 v28, a94
	v_pk_fma_f32 v[60:61], v[24:25], v[16:17], v[20:21] op_sel:[0,0,1] op_sel_hi:[1,1,0]
	v_pk_fma_f32 v[16:17], v[24:25], v[16:17], v[20:21] op_sel:[0,0,1] op_sel_hi:[1,1,0] neg_lo:[0,0,1] neg_hi:[0,0,1]
	v_accvgpr_read_b32 v20, a210
	v_mov_b32_e32 v61, v17
	v_pk_mul_f32 v[16:17], v[242:243], v[22:23]
	v_accvgpr_read_b32 v21, a211
	v_pk_fma_f32 v[62:63], v[20:21], v[22:23], v[16:17] op_sel:[0,0,1] op_sel_hi:[1,1,0]
	v_pk_fma_f32 v[16:17], v[20:21], v[22:23], v[16:17] op_sel:[0,0,1] op_sel_hi:[1,1,0] neg_lo:[0,0,1] neg_hi:[0,0,1]
	ds_read2_b64 v[20:23], v186 offset0:204 offset1:255
	ds_read2_b64 v[24:27], v51 offset0:46 offset1:97
	v_mov_b32_e32 v63, v17
	v_pk_add_f32 v[16:17], v[14:15], v[60:61]
	v_accvgpr_read_b32 v29, a95
	v_pk_add_f32 v[66:67], v[16:17], v[62:63]
	v_pk_mul_f32 v[16:17], v[28:29], v[18:19]
	v_accvgpr_read_b32 v28, a214
	v_accvgpr_read_b32 v29, a215
	v_pk_fma_f32 v[68:69], v[28:29], v[18:19], v[16:17] op_sel:[0,0,1] op_sel_hi:[1,1,0]
	v_pk_fma_f32 v[16:17], v[28:29], v[18:19], v[16:17] op_sel:[0,0,1] op_sel_hi:[1,1,0] neg_lo:[0,0,1] neg_hi:[0,0,1]
	v_accvgpr_read_b32 v30, a96
	v_accvgpr_read_b32 v31, a97
	v_mov_b32_e32 v69, v17
	ds_read2_b64 v[16:19], v47 offset0:48 offset1:99
	s_waitcnt lgkmcnt(1)
	v_pk_mul_f32 v[28:29], v[30:31], v[24:25]
	v_accvgpr_read_b32 v30, a212
	v_accvgpr_read_b32 v31, a213
	v_pk_fma_f32 v[70:71], v[30:31], v[24:25], v[28:29] op_sel:[0,0,1] op_sel_hi:[1,1,0]
	v_pk_fma_f32 v[24:25], v[30:31], v[24:25], v[28:29] op_sel:[0,0,1] op_sel_hi:[1,1,0] neg_lo:[0,0,1] neg_hi:[0,0,1]
	v_accvgpr_read_b32 v28, a82
	v_mov_b32_e32 v71, v25
	v_pk_add_f32 v[24:25], v[20:21], v[68:69]
	v_accvgpr_read_b32 v29, a83
	v_pk_add_f32 v[72:73], v[24:25], v[70:71]
	s_waitcnt lgkmcnt(0)
	v_pk_mul_f32 v[24:25], v[28:29], v[16:17]
	v_accvgpr_read_b32 v28, a216
	v_accvgpr_read_b32 v29, a217
	v_accvgpr_read_b32 v30, a84
	v_accvgpr_read_b32 v31, a85
	v_pk_fma_f32 v[74:75], v[28:29], v[16:17], v[24:25] op_sel:[0,0,1] op_sel_hi:[1,1,0]
	v_pk_fma_f32 v[16:17], v[28:29], v[16:17], v[24:25] op_sel:[0,0,1] op_sel_hi:[1,1,0] neg_lo:[0,0,1] neg_hi:[0,0,1]
	v_accvgpr_read_b32 v24, a218
	v_mov_b32_e32 v75, v17
	v_pk_mul_f32 v[16:17], v[30:31], v[26:27]
	v_accvgpr_read_b32 v25, a219
	v_pk_fma_f32 v[76:77], v[24:25], v[26:27], v[16:17] op_sel:[0,0,1] op_sel_hi:[1,1,0]
	v_pk_fma_f32 v[16:17], v[24:25], v[26:27], v[16:17] op_sel:[0,0,1] op_sel_hi:[1,1,0] neg_lo:[0,0,1] neg_hi:[0,0,1]
	ds_read2_b64 v[24:27], v53 offset0:50 offset1:101
	ds_read2_b64 v[28:31], v51 offset0:148 offset1:199
	v_mov_b32_e32 v77, v17
	v_pk_add_f32 v[16:17], v[22:23], v[74:75]
	v_accvgpr_read_b32 v32, a188
	v_pk_add_f32 v[78:79], v[16:17], v[76:77]
	v_pk_mul_f32 v[16:17], v[208:209], v[18:19]
	v_accvgpr_read_b32 v33, a189
	v_pk_fma_f32 v[80:81], v[32:33], v[18:19], v[16:17] op_sel:[0,0,1] op_sel_hi:[1,1,0]
	v_pk_fma_f32 v[16:17], v[32:33], v[18:19], v[16:17] op_sel:[0,0,1] op_sel_hi:[1,1,0] neg_lo:[0,0,1] neg_hi:[0,0,1]
	v_accvgpr_read_b32 v34, a192
	v_mov_b32_e32 v81, v17
	ds_read2_b64 v[16:19], v47 offset0:150 offset1:201
	s_waitcnt lgkmcnt(1)
	v_pk_mul_f32 v[32:33], v[210:211], v[28:29]
	v_accvgpr_read_b32 v35, a193
	v_pk_fma_f32 v[82:83], v[34:35], v[28:29], v[32:33] op_sel:[0,0,1] op_sel_hi:[1,1,0]
	v_pk_fma_f32 v[28:29], v[34:35], v[28:29], v[32:33] op_sel:[0,0,1] op_sel_hi:[1,1,0] neg_lo:[0,0,1] neg_hi:[0,0,1]
	v_accvgpr_read_b32 v32, a54
	v_mov_b32_e32 v83, v29
	v_pk_add_f32 v[28:29], v[24:25], v[80:81]
	v_accvgpr_read_b32 v33, a55
	v_pk_add_f32 v[84:85], v[28:29], v[82:83]
	s_waitcnt lgkmcnt(0)
	v_pk_mul_f32 v[28:29], v[32:33], v[16:17] op_sel:[1,0]
	v_accvgpr_read_b32 v34, a56
	v_accvgpr_read_b32 v35, a57
	v_pk_fma_f32 v[86:87], v[32:33], v[16:17], v[28:29] op_sel:[0,0,1] op_sel_hi:[1,1,0]
	v_pk_fma_f32 v[16:17], v[32:33], v[16:17], v[28:29] op_sel:[0,0,1] op_sel_hi:[0,1,0] neg_lo:[0,0,1] neg_hi:[0,0,1]
	v_mov_b32_e32 v87, v17
	v_pk_mul_f32 v[16:17], v[34:35], v[30:31] op_sel:[1,0]
	v_accvgpr_read_b32 v106, a190
	v_pk_fma_f32 v[88:89], v[34:35], v[30:31], v[16:17] op_sel:[0,0,1] op_sel_hi:[1,1,0]
	v_pk_fma_f32 v[16:17], v[34:35], v[30:31], v[16:17] op_sel:[0,0,1] op_sel_hi:[0,1,0] neg_lo:[0,0,1] neg_hi:[0,0,1]
	v_mov_b32_e32 v89, v17
	v_pk_add_f32 v[16:17], v[26:27], v[86:87]
	ds_read2_b64 v[28:31], v53 offset0:152 offset1:203
	ds_read2_b64 v[32:35], v46 offset0:122 offset1:173
	v_pk_add_f32 v[90:91], v[16:17], v[88:89]
	v_pk_mul_f32 v[16:17], v[216:217], v[18:19]
	v_accvgpr_read_b32 v107, a191
	v_pk_fma_f32 v[92:93], v[220:221], v[18:19], v[16:17] op_sel:[0,0,1] op_sel_hi:[1,1,0]
	v_pk_fma_f32 v[16:17], v[220:221], v[18:19], v[16:17] op_sel:[0,0,1] op_sel_hi:[1,1,0] neg_lo:[0,0,1] neg_hi:[0,0,1]
	s_waitcnt lgkmcnt(0)
	v_pk_mul_f32 v[94:95], v[218:219], v[32:33]
	v_mov_b32_e32 v93, v17
	ds_read2_b64 v[16:19], v52 offset0:124 offset1:175
	v_pk_fma_f32 v[96:97], v[224:225], v[32:33], v[94:95] op_sel:[0,0,1] op_sel_hi:[1,1,0]
	v_pk_fma_f32 v[32:33], v[224:225], v[32:33], v[94:95] op_sel:[0,0,1] op_sel_hi:[1,1,0] neg_lo:[0,0,1] neg_hi:[0,0,1]
	v_mov_b32_e32 v39, v3
	v_pk_add_f32 v[2:3], v[8:9], v[36:37]
	s_waitcnt lgkmcnt(0)
	v_pk_mul_f32 v[94:95], v[212:213], v[16:17]
	v_pk_mul_f32 v[100:101], v[246:247], v[18:19]
	v_pk_fma_f32 v[98:99], v[250:251], v[16:17], v[94:95] op_sel:[0,0,1] op_sel_hi:[1,1,0]
	v_pk_fma_f32 v[16:17], v[250:251], v[16:17], v[94:95] op_sel:[0,0,1] op_sel_hi:[1,1,0] neg_lo:[0,0,1] neg_hi:[0,0,1]
	v_pk_fma_f32 v[102:103], v[106:107], v[18:19], v[100:101] op_sel:[0,0,1] op_sel_hi:[1,1,0]
	v_mov_b32_e32 v99, v17
	v_pk_mul_f32 v[16:17], v[214:215], v[34:35]
	v_pk_fma_f32 v[18:19], v[106:107], v[18:19], v[100:101] op_sel:[0,0,1] op_sel_hi:[1,1,0] neg_lo:[0,0,1] neg_hi:[0,0,1]
	v_pk_fma_f32 v[94:95], v[236:237], v[34:35], v[16:17] op_sel:[0,0,1] op_sel_hi:[1,1,0]
	v_pk_fma_f32 v[16:17], v[236:237], v[34:35], v[16:17] op_sel:[0,0,1] op_sel_hi:[1,1,0] neg_lo:[0,0,1] neg_hi:[0,0,1]
	ds_read_b64 v[34:35], v186 offset:13056
	v_accvgpr_read_b32 v106, a194
	v_mov_b32_e32 v103, v19
	v_accvgpr_read_b32 v107, a195
	v_pk_add_f32 v[2:3], v[2:3], v[38:39]
	s_waitcnt lgkmcnt(0)
	v_pk_mul_f32 v[18:19], v[248:249], v[34:35]
	v_mov_b32_e32 v97, v33
	v_pk_fma_f32 v[100:101], v[106:107], v[34:35], v[18:19] op_sel:[0,0,1] op_sel_hi:[1,1,0]
	v_pk_fma_f32 v[18:19], v[106:107], v[34:35], v[18:19] op_sel:[0,0,1] op_sel_hi:[1,1,0] neg_lo:[0,0,1] neg_hi:[0,0,1]
	v_pk_add_f32 v[34:35], v[36:37], v[38:39]
	v_mov_b32_e32 v95, v17
	v_pk_fma_f32 v[8:9], v[34:35], 0.5, v[8:9] op_sel_hi:[1,0,1] neg_lo:[1,0,0] neg_hi:[1,0,0]
	v_pk_add_f32 v[34:35], v[36:37], v[38:39] neg_lo:[0,1] neg_hi:[0,1]
	v_pk_add_f32 v[32:33], v[28:29], v[92:93]
	v_pk_mul_f32 v[34:35], v[34:35], s[0:1] op_sel_hi:[1,0]
	v_pk_add_f32 v[16:17], v[30:31], v[98:99]
	v_pk_add_f32 v[36:37], v[8:9], v[34:35] op_sel:[0,1] op_sel_hi:[1,0] neg_lo:[0,1] neg_hi:[0,1]
	v_pk_add_f32 v[8:9], v[8:9], v[34:35] op_sel:[0,1] op_sel_hi:[1,0]
	v_mov_b32_e32 v35, v37
	v_mov_b32_e32 v34, v8
	;; [unrolled: 1-line block ×3, first 2 shown]
	v_pk_add_f32 v[8:9], v[40:41], v[42:43]
	v_pk_add_f32 v[32:33], v[32:33], v[96:97]
	v_pk_fma_f32 v[8:9], v[8:9], 0.5, v[10:11] op_sel_hi:[1,0,1] neg_lo:[1,0,0] neg_hi:[1,0,0]
	v_pk_add_f32 v[10:11], v[40:41], v[42:43] neg_lo:[0,1] neg_hi:[0,1]
	v_pk_add_f32 v[16:17], v[16:17], v[94:95]
	v_pk_mul_f32 v[10:11], v[10:11], s[0:1] op_sel_hi:[1,0]
	v_mov_b32_e32 v101, v19
	v_pk_add_f32 v[38:39], v[8:9], v[10:11] op_sel:[0,1] op_sel_hi:[1,0] neg_lo:[0,1] neg_hi:[0,1]
	v_pk_add_f32 v[8:9], v[8:9], v[10:11] op_sel:[0,1] op_sel_hi:[1,0]
	v_mov_b32_e32 v11, v39
	v_mov_b32_e32 v10, v8
	ds_write2_b64 v48, v[34:35], v[10:11] offset0:98 offset1:149
	v_mov_b32_e32 v39, v9
	v_pk_add_f32 v[8:9], v[54:55], v[56:57]
	v_pk_add_f32 v[10:11], v[54:55], v[56:57] neg_lo:[0,1] neg_hi:[0,1]
	v_pk_fma_f32 v[8:9], v[8:9], 0.5, v[12:13] op_sel_hi:[1,0,1] neg_lo:[1,0,0] neg_hi:[1,0,0]
	v_pk_mul_f32 v[10:11], v[10:11], s[0:1] op_sel_hi:[1,0]
	v_pk_add_f32 v[18:19], v[0:1], v[102:103]
	v_pk_add_f32 v[12:13], v[8:9], v[10:11] op_sel:[0,1] op_sel_hi:[1,0] neg_lo:[0,1] neg_hi:[0,1]
	v_pk_add_f32 v[8:9], v[8:9], v[10:11] op_sel:[0,1] op_sel_hi:[1,0]
	v_mov_b32_e32 v11, v13
	v_mov_b32_e32 v13, v9
	;; [unrolled: 1-line block ×3, first 2 shown]
	ds_write2_b64 v49, v[38:39], v[12:13] offset0:100 offset1:151
	v_pk_add_f32 v[8:9], v[60:61], v[62:63]
	v_pk_add_f32 v[12:13], v[60:61], v[62:63] neg_lo:[0,1] neg_hi:[0,1]
	v_pk_fma_f32 v[8:9], v[8:9], 0.5, v[14:15] op_sel_hi:[1,0,1] neg_lo:[1,0,0] neg_hi:[1,0,0]
	v_pk_mul_f32 v[12:13], v[12:13], s[0:1] op_sel_hi:[1,0]
	v_pk_add_f32 v[18:19], v[18:19], v[100:101]
	v_pk_add_f32 v[14:15], v[8:9], v[12:13] op_sel:[0,1] op_sel_hi:[1,0] neg_lo:[0,1] neg_hi:[0,1]
	v_pk_add_f32 v[8:9], v[8:9], v[12:13] op_sel:[0,1] op_sel_hi:[1,0]
	v_mov_b32_e32 v13, v15
	v_mov_b32_e32 v12, v8
	ds_write2_b64 v48, v[10:11], v[12:13] offset0:200 offset1:251
	v_mov_b32_e32 v15, v9
	ds_write2_b64 v186, v[2:3], v[44:45] offset1:51
	ds_write2_b64 v186, v[58:59], v[66:67] offset0:102 offset1:153
	v_pk_add_f32 v[2:3], v[68:69], v[70:71]
	v_pk_add_f32 v[8:9], v[68:69], v[70:71] neg_lo:[0,1] neg_hi:[0,1]
	v_pk_fma_f32 v[2:3], v[2:3], 0.5, v[20:21] op_sel_hi:[1,0,1] neg_lo:[1,0,0] neg_hi:[1,0,0]
	v_pk_mul_f32 v[8:9], v[8:9], s[0:1] op_sel_hi:[1,0]
	v_accvgpr_read_b32 v104, a30
	v_pk_add_f32 v[10:11], v[2:3], v[8:9] op_sel:[0,1] op_sel_hi:[1,0] neg_lo:[0,1] neg_hi:[0,1]
	v_pk_add_f32 v[2:3], v[2:3], v[8:9] op_sel:[0,1] op_sel_hi:[1,0]
	v_mov_b32_e32 v8, v10
	v_mov_b32_e32 v9, v3
	ds_write2_b64 v49, v[14:15], v[8:9] offset0:202 offset1:253
	v_mov_b32_e32 v3, v11
	v_pk_add_f32 v[8:9], v[74:75], v[76:77]
	v_pk_add_f32 v[10:11], v[74:75], v[76:77] neg_lo:[0,1] neg_hi:[0,1]
	v_pk_fma_f32 v[8:9], v[8:9], 0.5, v[22:23] op_sel_hi:[1,0,1] neg_lo:[1,0,0] neg_hi:[1,0,0]
	v_pk_mul_f32 v[10:11], v[10:11], s[0:1] op_sel_hi:[1,0]
	v_mad_u64_u32 v[4:5], s[8:9], s6, v104, 0
	v_pk_add_f32 v[12:13], v[8:9], v[10:11] op_sel:[0,1] op_sel_hi:[1,0] neg_lo:[0,1] neg_hi:[0,1]
	v_pk_add_f32 v[8:9], v[8:9], v[10:11] op_sel:[0,1] op_sel_hi:[1,0]
	v_mov_b32_e32 v10, v12
	v_mov_b32_e32 v11, v9
	;; [unrolled: 1-line block ×3, first 2 shown]
	ds_write2_b64 v51, v[2:3], v[8:9] offset0:46 offset1:97
	v_pk_add_f32 v[2:3], v[80:81], v[82:83]
	v_pk_add_f32 v[8:9], v[80:81], v[82:83] neg_lo:[0,1] neg_hi:[0,1]
	v_pk_fma_f32 v[2:3], v[2:3], 0.5, v[24:25] op_sel_hi:[1,0,1] neg_lo:[1,0,0] neg_hi:[1,0,0]
	v_pk_mul_f32 v[8:9], v[8:9], s[0:1] op_sel_hi:[1,0]
	v_mov_b32_e32 v6, v5
	v_pk_add_f32 v[12:13], v[2:3], v[8:9] op_sel:[0,1] op_sel_hi:[1,0] neg_lo:[0,1] neg_hi:[0,1]
	v_pk_add_f32 v[2:3], v[2:3], v[8:9] op_sel:[0,1] op_sel_hi:[1,0]
	v_mov_b32_e32 v8, v12
	v_mov_b32_e32 v9, v3
	ds_write2_b64 v47, v[10:11], v[8:9] offset0:48 offset1:99
	v_pk_add_f32 v[8:9], v[86:87], v[88:89]
	v_pk_add_f32 v[10:11], v[86:87], v[88:89] neg_lo:[0,1] neg_hi:[0,1]
	v_pk_fma_f32 v[8:9], v[8:9], 0.5, v[26:27] op_sel_hi:[1,0,1] neg_lo:[1,0,0] neg_hi:[1,0,0]
	v_pk_mul_f32 v[10:11], v[10:11], s[0:1] op_sel_hi:[1,0]
	v_mov_b32_e32 v3, v13
	v_pk_add_f32 v[12:13], v[8:9], v[10:11] op_sel:[0,1] op_sel_hi:[1,0] neg_lo:[0,1] neg_hi:[0,1]
	v_pk_add_f32 v[8:9], v[8:9], v[10:11] op_sel:[0,1] op_sel_hi:[1,0]
	ds_write2_b64 v186, v[72:73], v[78:79] offset0:204 offset1:255
	ds_write2_b64 v53, v[84:85], v[90:91] offset0:50 offset1:101
	v_mov_b32_e32 v11, v9
	v_mov_b32_e32 v9, v13
	ds_write2_b64 v51, v[2:3], v[8:9] offset0:148 offset1:199
	v_pk_add_f32 v[2:3], v[92:93], v[96:97]
	v_pk_add_f32 v[8:9], v[92:93], v[96:97] neg_lo:[0,1] neg_hi:[0,1]
	v_pk_fma_f32 v[2:3], v[2:3], 0.5, v[28:29] op_sel_hi:[1,0,1] neg_lo:[1,0,0] neg_hi:[1,0,0]
	v_pk_mul_f32 v[8:9], v[8:9], s[0:1] op_sel_hi:[1,0]
	v_mov_b32_e32 v10, v12
	v_pk_add_f32 v[12:13], v[2:3], v[8:9] op_sel:[0,1] op_sel_hi:[1,0] neg_lo:[0,1] neg_hi:[0,1]
	v_pk_add_f32 v[2:3], v[2:3], v[8:9] op_sel:[0,1] op_sel_hi:[1,0]
	v_mov_b32_e32 v8, v12
	v_mov_b32_e32 v9, v3
	ds_write2_b64 v47, v[10:11], v[8:9] offset0:150 offset1:201
	v_pk_add_f32 v[8:9], v[98:99], v[94:95]
	v_pk_add_f32 v[10:11], v[98:99], v[94:95] neg_lo:[0,1] neg_hi:[0,1]
	v_pk_fma_f32 v[8:9], v[8:9], 0.5, v[30:31] op_sel_hi:[1,0,1] neg_lo:[1,0,0] neg_hi:[1,0,0]
	v_pk_mul_f32 v[10:11], v[10:11], s[0:1] op_sel_hi:[1,0]
	v_mov_b32_e32 v3, v13
	v_pk_add_f32 v[12:13], v[8:9], v[10:11] op_sel:[0,1] op_sel_hi:[1,0] neg_lo:[0,1] neg_hi:[0,1]
	v_pk_add_f32 v[8:9], v[8:9], v[10:11] op_sel:[0,1] op_sel_hi:[1,0]
	ds_write2_b64 v53, v[32:33], v[16:17] offset0:152 offset1:203
	v_mov_b32_e32 v11, v9
	v_mov_b32_e32 v9, v13
	ds_write2_b64 v46, v[2:3], v[8:9] offset0:122 offset1:173
	ds_write2_b64 v50, v[18:19], v[36:37] offset0:126 offset1:177
	v_pk_add_f32 v[2:3], v[102:103], v[100:101]
	v_mov_b32_e32 v10, v12
	v_pk_fma_f32 v[0:1], v[2:3], 0.5, v[0:1] op_sel_hi:[1,0,1] neg_lo:[1,0,0] neg_hi:[1,0,0]
	v_pk_add_f32 v[2:3], v[102:103], v[100:101] neg_lo:[0,1] neg_hi:[0,1]
	v_accvgpr_read_b32 v14, a2
	v_pk_mul_f32 v[2:3], v[2:3], s[0:1] op_sel_hi:[1,0]
	v_mad_u64_u32 v[6:7], s[0:1], s7, v104, v[6:7]
	v_pk_add_f32 v[8:9], v[0:1], v[2:3] op_sel:[0,1] op_sel_hi:[1,0] neg_lo:[0,1] neg_hi:[0,1]
	v_pk_add_f32 v[0:1], v[0:1], v[2:3] op_sel:[0,1] op_sel_hi:[1,0]
	v_mov_b32_e32 v2, v8
	v_mov_b32_e32 v3, v1
	;; [unrolled: 1-line block ×3, first 2 shown]
	ds_write2_b64 v52, v[10:11], v[2:3] offset0:124 offset1:175
	ds_write_b64 v186, v[0:1] offset:13056
	s_waitcnt lgkmcnt(0)
	; wave barrier
	s_waitcnt lgkmcnt(0)
	ds_read2_b64 v[0:3], v186 offset1:99
	v_accvgpr_read_b32 v8, a40
	v_accvgpr_read_b32 v9, a41
	v_mov_b32_e32 v5, v6
	s_mov_b32 s0, 0x87d568ce
	s_waitcnt lgkmcnt(0)
	v_mul_f32_e32 v6, v9, v1
	v_fmac_f32_e32 v6, v8, v0
	v_mul_f32_e32 v0, v9, v0
	v_fma_f32 v0, v8, v1, -v0
	v_cvt_f64_f32_e32 v[6:7], v6
	s_mov_b32 s1, 0x3f437851
	v_cvt_f64_f32_e32 v[0:1], v0
	v_mul_f64 v[6:7], v[6:7], s[0:1]
	v_mul_f64 v[0:1], v[0:1], s[0:1]
	v_mad_u64_u32 v[8:9], s[6:7], s4, v14, 0
	v_cvt_f32_f64_e32 v6, v[6:7]
	v_cvt_f32_f64_e32 v7, v[0:1]
	v_mov_b32_e32 v0, v9
	v_mad_u64_u32 v[0:1], s[6:7], s5, v14, v[0:1]
	v_mov_b32_e32 v9, v0
	v_lshl_add_u64 v[0:1], v[4:5], 3, v[64:65]
	v_lshl_add_u64 v[10:11], v[8:9], 3, v[0:1]
	global_store_dwordx2 v[10:11], v[6:7], off
	v_accvgpr_read_b32 v6, a38
	v_accvgpr_read_b32 v7, a39
	v_mul_f32_e32 v4, v7, v3
	v_fmac_f32_e32 v4, v6, v2
	v_cvt_f64_f32_e32 v[4:5], v4
	v_mul_f64 v[4:5], v[4:5], s[0:1]
	v_mul_f32_e32 v2, v7, v2
	v_cvt_f32_f64_e32 v12, v[4:5]
	v_fma_f32 v2, v6, v3, -v2
	s_mul_i32 s6, s5, 0x63
	s_mul_hi_u32 s7, s4, 0x63
	v_add_u32_e32 v5, 0x400, v186
	v_cvt_f64_f32_e32 v[2:3], v2
	s_add_i32 s7, s7, s6
	ds_read2_b64 v[6:9], v5 offset0:70 offset1:169
	s_mul_i32 s6, s4, 0x63
	v_mul_f64 v[2:3], v[2:3], s[0:1]
	s_lshl_b64 s[6:7], s[6:7], 3
	v_cvt_f32_f64_e32 v13, v[2:3]
	v_lshl_add_u64 v[2:3], v[10:11], 0, s[6:7]
	global_store_dwordx2 v[2:3], v[12:13], off
	v_accvgpr_read_b32 v12, a36
	v_accvgpr_read_b32 v13, a37
	s_waitcnt lgkmcnt(0)
	v_mul_f32_e32 v4, v13, v7
	v_fmac_f32_e32 v4, v12, v6
	v_cvt_f64_f32_e32 v[10:11], v4
	v_mul_f32_e32 v4, v13, v6
	v_fma_f32 v4, v12, v7, -v4
	v_accvgpr_read_b32 v12, a32
	v_accvgpr_read_b32 v13, a33
	v_cvt_f64_f32_e32 v[6:7], v4
	v_mul_f32_e32 v4, v13, v9
	v_mul_f64 v[10:11], v[10:11], s[0:1]
	v_mul_f64 v[6:7], v[6:7], s[0:1]
	v_fmac_f32_e32 v4, v12, v8
	v_cvt_f32_f64_e32 v10, v[10:11]
	v_cvt_f32_f64_e32 v11, v[6:7]
	v_cvt_f64_f32_e32 v[6:7], v4
	v_lshl_add_u64 v[2:3], v[2:3], 0, s[6:7]
	v_mul_f64 v[6:7], v[6:7], s[0:1]
	v_mul_f32_e32 v4, v13, v8
	global_store_dwordx2 v[2:3], v[10:11], off
	v_cvt_f32_f64_e32 v10, v[6:7]
	v_fma_f32 v4, v12, v9, -v4
	ds_read2_b64 v[6:9], v53 offset0:140 offset1:239
	v_cvt_f64_f32_e32 v[12:13], v4
	v_mul_f64 v[12:13], v[12:13], s[0:1]
	v_cvt_f32_f64_e32 v11, v[12:13]
	v_accvgpr_read_b32 v12, a34
	v_accvgpr_read_b32 v13, a35
	s_waitcnt lgkmcnt(0)
	v_mul_f32_e32 v4, v13, v7
	v_lshl_add_u64 v[2:3], v[2:3], 0, s[6:7]
	v_fmac_f32_e32 v4, v12, v6
	global_store_dwordx2 v[2:3], v[10:11], off
	v_cvt_f64_f32_e32 v[10:11], v4
	v_mul_f32_e32 v4, v13, v6
	v_fma_f32 v4, v12, v7, -v4
	v_accvgpr_read_b32 v12, a28
	v_accvgpr_read_b32 v13, a29
	v_cvt_f64_f32_e32 v[6:7], v4
	v_mul_f32_e32 v4, v13, v9
	v_mul_f64 v[10:11], v[10:11], s[0:1]
	v_mul_f64 v[6:7], v[6:7], s[0:1]
	v_fmac_f32_e32 v4, v12, v8
	v_cvt_f32_f64_e32 v10, v[10:11]
	v_cvt_f32_f64_e32 v11, v[6:7]
	v_cvt_f64_f32_e32 v[6:7], v4
	v_lshl_add_u64 v[2:3], v[2:3], 0, s[6:7]
	v_mul_f64 v[6:7], v[6:7], s[0:1]
	v_mul_f32_e32 v4, v13, v8
	global_store_dwordx2 v[2:3], v[10:11], off
	v_cvt_f32_f64_e32 v10, v[6:7]
	v_fma_f32 v4, v12, v9, -v4
	ds_read2_b64 v[6:9], v49 offset0:82 offset1:181
	v_cvt_f64_f32_e32 v[12:13], v4
	v_mul_f64 v[12:13], v[12:13], s[0:1]
	v_cvt_f32_f64_e32 v11, v[12:13]
	v_accvgpr_read_b32 v12, a26
	v_accvgpr_read_b32 v13, a27
	s_waitcnt lgkmcnt(0)
	v_mul_f32_e32 v4, v13, v7
	v_lshl_add_u64 v[2:3], v[2:3], 0, s[6:7]
	v_fmac_f32_e32 v4, v12, v6
	global_store_dwordx2 v[2:3], v[10:11], off
	;; [unrolled: 30-line block ×4, first 2 shown]
	v_cvt_f64_f32_e32 v[10:11], v4
	v_mul_f32_e32 v4, v13, v6
	v_fma_f32 v4, v12, v7, -v4
	v_accvgpr_read_b32 v12, a18
	v_accvgpr_read_b32 v13, a19
	v_cvt_f64_f32_e32 v[6:7], v4
	v_mul_f32_e32 v4, v13, v9
	v_mul_f64 v[10:11], v[10:11], s[0:1]
	v_mul_f64 v[6:7], v[6:7], s[0:1]
	v_fmac_f32_e32 v4, v12, v8
	v_cvt_f32_f64_e32 v10, v[10:11]
	v_cvt_f32_f64_e32 v11, v[6:7]
	v_cvt_f64_f32_e32 v[6:7], v4
	v_mul_f32_e32 v4, v13, v8
	v_fma_f32 v4, v12, v9, -v4
	v_lshl_add_u64 v[2:3], v[2:3], 0, s[6:7]
	v_mul_f64 v[6:7], v[6:7], s[0:1]
	v_cvt_f64_f32_e32 v[12:13], v4
	v_add_u32_e32 v4, 0x2400, v186
	global_store_dwordx2 v[2:3], v[10:11], off
	v_cvt_f32_f64_e32 v10, v[6:7]
	ds_read2_b64 v[6:9], v4 offset0:36 offset1:135
	v_mul_f64 v[12:13], v[12:13], s[0:1]
	v_cvt_f32_f64_e32 v11, v[12:13]
	v_accvgpr_read_b32 v12, a14
	v_lshl_add_u64 v[2:3], v[2:3], 0, s[6:7]
	v_accvgpr_read_b32 v13, a15
	global_store_dwordx2 v[2:3], v[10:11], off
	s_waitcnt lgkmcnt(0)
	v_mul_f32_e32 v10, v13, v7
	v_fmac_f32_e32 v10, v12, v6
	v_mul_f32_e32 v6, v13, v6
	v_fma_f32 v6, v12, v7, -v6
	v_cvt_f64_f32_e32 v[10:11], v10
	v_cvt_f64_f32_e32 v[6:7], v6
	v_accvgpr_read_b32 v12, a12
	v_mul_f64 v[10:11], v[10:11], s[0:1]
	v_mul_f64 v[6:7], v[6:7], s[0:1]
	v_accvgpr_read_b32 v13, a13
	v_cvt_f32_f64_e32 v10, v[10:11]
	v_cvt_f32_f64_e32 v11, v[6:7]
	v_mul_f32_e32 v6, v13, v9
	v_fmac_f32_e32 v6, v12, v8
	v_cvt_f64_f32_e32 v[6:7], v6
	v_lshl_add_u64 v[2:3], v[2:3], 0, s[6:7]
	v_mul_f64 v[6:7], v[6:7], s[0:1]
	global_store_dwordx2 v[2:3], v[10:11], off
	v_cvt_f32_f64_e32 v10, v[6:7]
	v_mul_f32_e32 v6, v13, v8
	v_fma_f32 v6, v12, v9, -v6
	v_cvt_f64_f32_e32 v[12:13], v6
	ds_read2_b64 v[6:9], v51 offset0:106 offset1:205
	v_mul_f64 v[12:13], v[12:13], s[0:1]
	v_cvt_f32_f64_e32 v11, v[12:13]
	v_lshl_add_u64 v[2:3], v[2:3], 0, s[6:7]
	v_accvgpr_read_b32 v13, a11
	global_store_dwordx2 v[2:3], v[10:11], off
	v_accvgpr_read_b32 v12, a10
	s_waitcnt lgkmcnt(0)
	v_mul_f32_e32 v10, v13, v7
	v_fmac_f32_e32 v10, v12, v6
	v_mul_f32_e32 v6, v13, v6
	v_fma_f32 v6, v12, v7, -v6
	v_cvt_f64_f32_e32 v[10:11], v10
	v_cvt_f64_f32_e32 v[6:7], v6
	v_mul_f64 v[10:11], v[10:11], s[0:1]
	v_mul_f64 v[6:7], v[6:7], s[0:1]
	v_cvt_f32_f64_e32 v10, v[10:11]
	v_cvt_f32_f64_e32 v11, v[6:7]
	v_lshl_add_u64 v[2:3], v[2:3], 0, s[6:7]
	global_store_dwordx2 v[2:3], v[10:11], off
	v_accvgpr_read_b32 v11, a9
	v_accvgpr_read_b32 v10, a8
	v_mul_f32_e32 v6, v11, v9
	v_fmac_f32_e32 v6, v10, v8
	v_cvt_f64_f32_e32 v[6:7], v6
	v_mul_f64 v[6:7], v[6:7], s[0:1]
	v_cvt_f32_f64_e32 v6, v[6:7]
	v_mul_f32_e32 v7, v11, v8
	v_fma_f32 v7, v10, v9, -v7
	ds_read_b64 v[10:11], v186 offset:12672
	v_cvt_f64_f32_e32 v[8:9], v7
	v_mul_f64 v[8:9], v[8:9], s[0:1]
	v_cvt_f32_f64_e32 v7, v[8:9]
	v_lshl_add_u64 v[2:3], v[2:3], 0, s[6:7]
	v_accvgpr_read_b32 v9, a7
	global_store_dwordx2 v[2:3], v[6:7], off
	v_accvgpr_read_b32 v8, a6
	s_waitcnt lgkmcnt(0)
	v_mul_f32_e32 v6, v9, v11
	v_fmac_f32_e32 v6, v8, v10
	v_cvt_f64_f32_e32 v[6:7], v6
	v_mul_f64 v[6:7], v[6:7], s[0:1]
	v_cvt_f32_f64_e32 v6, v[6:7]
	v_mul_f32_e32 v7, v9, v10
	v_fma_f32 v7, v8, v11, -v7
	v_cvt_f64_f32_e32 v[8:9], v7
	v_mul_f64 v[8:9], v[8:9], s[0:1]
	s_movk_i32 s9, 0x1000
	s_movk_i32 s8, 0x2000
	v_cvt_f32_f64_e32 v7, v[8:9]
	v_lshl_add_u64 v[2:3], v[2:3], 0, s[6:7]
	global_store_dwordx2 v[2:3], v[6:7], off
	s_and_b64 exec, exec, s[2:3]
	s_cbranch_execz .LBB0_15
; %bb.14:
	v_accvgpr_read_b32 v17, a4              ;  Reload Reuse
	scratch_load_dword v16, off, off offset:24 ; 4-byte Folded Reload
	ds_read2_b64 v[6:9], v186 offset0:51 offset1:150
	v_mov_b32_e32 v12, 0xffffd018
	v_mad_u64_u32 v[2:3], s[2:3], s4, v12, v[2:3]
	s_mul_i32 s10, s5, 0xffffd018
	s_sub_i32 s2, s10, s4
	v_add_u32_e32 v3, s2, v3
	s_waitcnt vmcnt(0)
	global_load_dwordx2 v[10:11], v[16:17], off offset:408
	s_waitcnt vmcnt(0) lgkmcnt(0)
	v_mul_f32_e32 v12, v7, v11
	v_mul_f32_e32 v11, v6, v11
	v_fmac_f32_e32 v12, v6, v10
	v_fma_f32 v10, v10, v7, -v11
	v_cvt_f64_f32_e32 v[6:7], v12
	v_cvt_f64_f32_e32 v[10:11], v10
	v_mul_f64 v[6:7], v[6:7], s[0:1]
	v_mul_f64 v[10:11], v[10:11], s[0:1]
	v_cvt_f32_f64_e32 v6, v[6:7]
	v_cvt_f32_f64_e32 v7, v[10:11]
	global_store_dwordx2 v[2:3], v[6:7], off
	global_load_dwordx2 v[6:7], v[16:17], off offset:1200
	v_lshl_add_u64 v[2:3], v[2:3], 0, s[6:7]
	v_add_co_u32_e32 v12, vcc, s9, v16
	s_waitcnt vmcnt(0)
	v_mul_f32_e32 v10, v9, v7
	v_mul_f32_e32 v7, v8, v7
	v_fmac_f32_e32 v10, v8, v6
	v_fma_f32 v8, v6, v9, -v7
	v_cvt_f64_f32_e32 v[6:7], v10
	v_cvt_f64_f32_e32 v[8:9], v8
	v_mul_f64 v[6:7], v[6:7], s[0:1]
	v_mul_f64 v[8:9], v[8:9], s[0:1]
	v_cvt_f32_f64_e32 v6, v[6:7]
	v_cvt_f32_f64_e32 v7, v[8:9]
	global_store_dwordx2 v[2:3], v[6:7], off
	global_load_dwordx2 v[10:11], v[16:17], off offset:1992
	ds_read2_b64 v[6:9], v5 offset0:121 offset1:220
	v_lshl_add_u64 v[2:3], v[2:3], 0, s[6:7]
	v_addc_co_u32_e32 v13, vcc, 0, v17, vcc
	s_waitcnt vmcnt(0) lgkmcnt(0)
	v_mul_f32_e32 v5, v7, v11
	v_mul_f32_e32 v11, v6, v11
	v_fmac_f32_e32 v5, v6, v10
	v_fma_f32 v10, v10, v7, -v11
	v_cvt_f64_f32_e32 v[6:7], v5
	v_cvt_f64_f32_e32 v[10:11], v10
	v_mul_f64 v[6:7], v[6:7], s[0:1]
	v_mul_f64 v[10:11], v[10:11], s[0:1]
	v_cvt_f32_f64_e32 v6, v[6:7]
	v_cvt_f32_f64_e32 v7, v[10:11]
	global_store_dwordx2 v[2:3], v[6:7], off
	global_load_dwordx2 v[6:7], v[16:17], off offset:2784
	v_lshl_add_u64 v[2:3], v[2:3], 0, s[6:7]
	s_waitcnt vmcnt(0)
	v_mul_f32_e32 v5, v9, v7
	v_mul_f32_e32 v7, v8, v7
	v_fmac_f32_e32 v5, v8, v6
	v_fma_f32 v8, v6, v9, -v7
	v_cvt_f64_f32_e32 v[6:7], v5
	v_cvt_f64_f32_e32 v[8:9], v8
	v_mul_f64 v[6:7], v[6:7], s[0:1]
	v_mul_f64 v[8:9], v[8:9], s[0:1]
	v_cvt_f32_f64_e32 v6, v[6:7]
	v_cvt_f32_f64_e32 v7, v[8:9]
	global_store_dwordx2 v[2:3], v[6:7], off
	global_load_dwordx2 v[10:11], v[16:17], off offset:3576
	ds_read2_b64 v[6:9], v50 offset0:63 offset1:162
	v_lshl_add_u64 v[2:3], v[2:3], 0, s[6:7]
	s_waitcnt vmcnt(0) lgkmcnt(0)
	v_mul_f32_e32 v5, v7, v11
	v_mul_f32_e32 v11, v6, v11
	v_fmac_f32_e32 v5, v6, v10
	v_fma_f32 v10, v10, v7, -v11
	v_cvt_f64_f32_e32 v[6:7], v5
	v_cvt_f64_f32_e32 v[10:11], v10
	v_mul_f64 v[6:7], v[6:7], s[0:1]
	v_mul_f64 v[10:11], v[10:11], s[0:1]
	v_cvt_f32_f64_e32 v6, v[6:7]
	v_cvt_f32_f64_e32 v7, v[10:11]
	global_store_dwordx2 v[2:3], v[6:7], off
	global_load_dwordx2 v[6:7], v[12:13], off offset:272
	v_lshl_add_u64 v[2:3], v[2:3], 0, s[6:7]
	s_waitcnt vmcnt(0)
	v_mul_f32_e32 v5, v9, v7
	v_mul_f32_e32 v7, v8, v7
	v_fmac_f32_e32 v5, v8, v6
	v_fma_f32 v8, v6, v9, -v7
	v_cvt_f64_f32_e32 v[6:7], v5
	v_cvt_f64_f32_e32 v[8:9], v8
	v_mul_f64 v[6:7], v[6:7], s[0:1]
	v_mul_f64 v[8:9], v[8:9], s[0:1]
	v_cvt_f32_f64_e32 v6, v[6:7]
	v_cvt_f32_f64_e32 v7, v[8:9]
	global_store_dwordx2 v[2:3], v[6:7], off
	global_load_dwordx2 v[10:11], v[12:13], off offset:1064
	ds_read2_b64 v[6:9], v49 offset0:133 offset1:232
	v_lshl_add_u64 v[2:3], v[2:3], 0, s[6:7]
	s_waitcnt vmcnt(0) lgkmcnt(0)
	v_mul_f32_e32 v5, v7, v11
	v_mul_f32_e32 v11, v6, v11
	v_fmac_f32_e32 v5, v6, v10
	v_fma_f32 v10, v10, v7, -v11
	v_cvt_f64_f32_e32 v[6:7], v5
	v_cvt_f64_f32_e32 v[10:11], v10
	v_mul_f64 v[6:7], v[6:7], s[0:1]
	v_mul_f64 v[10:11], v[10:11], s[0:1]
	v_cvt_f32_f64_e32 v6, v[6:7]
	v_cvt_f32_f64_e32 v7, v[10:11]
	global_store_dwordx2 v[2:3], v[6:7], off
	global_load_dwordx2 v[6:7], v[12:13], off offset:1856
	v_lshl_add_u64 v[2:3], v[2:3], 0, s[6:7]
	s_waitcnt vmcnt(0)
	v_mul_f32_e32 v5, v9, v7
	v_mul_f32_e32 v7, v8, v7
	v_fmac_f32_e32 v5, v8, v6
	v_fma_f32 v8, v6, v9, -v7
	v_cvt_f64_f32_e32 v[6:7], v5
	v_cvt_f64_f32_e32 v[8:9], v8
	v_mul_f64 v[6:7], v[6:7], s[0:1]
	v_mul_f64 v[8:9], v[8:9], s[0:1]
	v_cvt_f32_f64_e32 v6, v[6:7]
	v_cvt_f32_f64_e32 v7, v[8:9]
	global_store_dwordx2 v[2:3], v[6:7], off
	global_load_dwordx2 v[10:11], v[12:13], off offset:2648
	ds_read2_b64 v[6:9], v47 offset0:75 offset1:174
	v_lshl_add_u64 v[2:3], v[2:3], 0, s[6:7]
	s_waitcnt vmcnt(0) lgkmcnt(0)
	v_mul_f32_e32 v5, v7, v11
	v_mul_f32_e32 v11, v6, v11
	v_fmac_f32_e32 v5, v6, v10
	v_fma_f32 v10, v10, v7, -v11
	v_cvt_f64_f32_e32 v[6:7], v5
	v_cvt_f64_f32_e32 v[10:11], v10
	v_mul_f64 v[6:7], v[6:7], s[0:1]
	v_mul_f64 v[10:11], v[10:11], s[0:1]
	v_cvt_f32_f64_e32 v6, v[6:7]
	v_cvt_f32_f64_e32 v7, v[10:11]
	global_store_dwordx2 v[2:3], v[6:7], off
	global_load_dwordx2 v[6:7], v[12:13], off offset:3440
	v_add_co_u32_e32 v10, vcc, s8, v16
	v_lshl_add_u64 v[2:3], v[2:3], 0, s[6:7]
	s_nop 0
	v_addc_co_u32_e32 v11, vcc, 0, v17, vcc
	s_waitcnt vmcnt(0)
	v_mul_f32_e32 v5, v9, v7
	v_mul_f32_e32 v7, v8, v7
	v_fmac_f32_e32 v5, v8, v6
	v_fma_f32 v8, v6, v9, -v7
	v_cvt_f64_f32_e32 v[6:7], v5
	v_cvt_f64_f32_e32 v[8:9], v8
	v_mul_f64 v[6:7], v[6:7], s[0:1]
	v_mul_f64 v[8:9], v[8:9], s[0:1]
	v_cvt_f32_f64_e32 v6, v[6:7]
	v_cvt_f32_f64_e32 v7, v[8:9]
	global_store_dwordx2 v[2:3], v[6:7], off
	global_load_dwordx2 v[12:13], v[10:11], off offset:136
	ds_read2_b64 v[6:9], v48 offset0:17 offset1:116
	v_lshl_add_u64 v[2:3], v[2:3], 0, s[6:7]
	s_waitcnt vmcnt(0) lgkmcnt(0)
	v_mul_f32_e32 v5, v7, v13
	v_mul_f32_e32 v13, v6, v13
	v_fmac_f32_e32 v5, v6, v12
	v_fma_f32 v12, v12, v7, -v13
	v_cvt_f64_f32_e32 v[6:7], v5
	v_cvt_f64_f32_e32 v[12:13], v12
	v_mul_f64 v[6:7], v[6:7], s[0:1]
	v_mul_f64 v[12:13], v[12:13], s[0:1]
	v_cvt_f32_f64_e32 v6, v[6:7]
	v_cvt_f32_f64_e32 v7, v[12:13]
	global_store_dwordx2 v[2:3], v[6:7], off
	global_load_dwordx2 v[6:7], v[10:11], off offset:928
	v_lshl_add_u64 v[12:13], v[2:3], 0, s[6:7]
	s_waitcnt vmcnt(0)
	v_mul_f32_e32 v2, v9, v7
	v_mul_f32_e32 v3, v8, v7
	v_fmac_f32_e32 v2, v8, v6
	v_fma_f32 v5, v6, v9, -v3
	v_cvt_f64_f32_e32 v[2:3], v2
	v_cvt_f64_f32_e32 v[6:7], v5
	v_mul_f64 v[2:3], v[2:3], s[0:1]
	v_mul_f64 v[6:7], v[6:7], s[0:1]
	v_cvt_f32_f64_e32 v2, v[2:3]
	v_cvt_f32_f64_e32 v3, v[6:7]
	global_store_dwordx2 v[12:13], v[2:3], off
	global_load_dwordx2 v[6:7], v[10:11], off offset:1720
	ds_read2_b64 v[2:5], v4 offset0:87 offset1:186
	v_lshl_add_u64 v[8:9], v[12:13], 0, s[6:7]
	v_or_b32_e32 v13, 0x600, v14
	s_waitcnt vmcnt(0) lgkmcnt(0)
	v_mul_f32_e32 v12, v3, v7
	v_mul_f32_e32 v7, v2, v7
	v_fmac_f32_e32 v12, v2, v6
	v_fma_f32 v6, v6, v3, -v7
	v_cvt_f64_f32_e32 v[2:3], v12
	v_cvt_f64_f32_e32 v[6:7], v6
	v_mul_f64 v[2:3], v[2:3], s[0:1]
	v_mul_f64 v[6:7], v[6:7], s[0:1]
	v_cvt_f32_f64_e32 v2, v[2:3]
	v_cvt_f32_f64_e32 v3, v[6:7]
	global_store_dwordx2 v[8:9], v[2:3], off
	global_load_dwordx2 v[2:3], v[10:11], off offset:2512
	v_lshl_add_u64 v[6:7], v[8:9], 0, s[6:7]
	s_waitcnt vmcnt(0)
	v_mul_f32_e32 v8, v5, v3
	v_mul_f32_e32 v3, v4, v3
	v_fmac_f32_e32 v8, v4, v2
	v_fma_f32 v4, v2, v5, -v3
	v_cvt_f64_f32_e32 v[2:3], v8
	v_cvt_f64_f32_e32 v[4:5], v4
	v_mul_f64 v[2:3], v[2:3], s[0:1]
	v_mul_f64 v[4:5], v[4:5], s[0:1]
	v_cvt_f32_f64_e32 v2, v[2:3]
	v_cvt_f32_f64_e32 v3, v[4:5]
	global_store_dwordx2 v[6:7], v[2:3], off
	global_load_dwordx2 v[8:9], v[10:11], off offset:3304
	ds_read2_b64 v[2:5], v46 offset0:29 offset1:128
	v_lshl_add_u64 v[6:7], v[6:7], 0, s[6:7]
	v_lshlrev_b32_e32 v10, 3, v13
	s_movk_i32 s6, 0x3000
	s_waitcnt vmcnt(0) lgkmcnt(0)
	v_mul_f32_e32 v11, v3, v9
	v_mul_f32_e32 v9, v2, v9
	v_fmac_f32_e32 v11, v2, v8
	v_fma_f32 v8, v8, v3, -v9
	v_cvt_f64_f32_e32 v[2:3], v11
	v_cvt_f64_f32_e32 v[8:9], v8
	v_mul_f64 v[2:3], v[2:3], s[0:1]
	v_mul_f64 v[8:9], v[8:9], s[0:1]
	v_cvt_f32_f64_e32 v2, v[2:3]
	v_cvt_f32_f64_e32 v3, v[8:9]
	global_store_dwordx2 v[6:7], v[2:3], off
	global_load_dwordx2 v[2:3], v10, s[12:13]
	v_mad_u64_u32 v[8:9], s[2:3], s4, v13, 0
	v_mov_b32_e32 v12, v9
	v_mad_u64_u32 v[12:13], s[2:3], s5, v13, v[12:13]
	v_mov_b32_e32 v9, v12
	v_lshl_add_u64 v[0:1], v[8:9], 3, v[0:1]
	v_add_co_u32_e32 v10, vcc, s6, v16
	s_mulk_i32 s5, 0x630
	s_nop 0
	v_addc_co_u32_e32 v11, vcc, 0, v17, vcc
	s_waitcnt vmcnt(0)
	v_mul_f32_e32 v8, v5, v3
	v_mul_f32_e32 v3, v4, v3
	v_fmac_f32_e32 v8, v4, v2
	v_fma_f32 v4, v2, v5, -v3
	v_cvt_f64_f32_e32 v[2:3], v8
	v_cvt_f64_f32_e32 v[4:5], v4
	v_mul_f64 v[2:3], v[2:3], s[0:1]
	v_mul_f64 v[4:5], v[4:5], s[0:1]
	v_cvt_f32_f64_e32 v2, v[2:3]
	v_cvt_f32_f64_e32 v3, v[4:5]
	global_store_dwordx2 v[0:1], v[2:3], off
	global_load_dwordx2 v[0:1], v[10:11], off offset:792
	ds_read_b64 v[2:3], v186 offset:13080
	v_mov_b32_e32 v4, 0x630
	v_mad_u64_u32 v[4:5], s[2:3], s4, v4, v[6:7]
	v_add_u32_e32 v5, s5, v5
	s_waitcnt vmcnt(0) lgkmcnt(0)
	v_mul_f32_e32 v6, v3, v1
	v_mul_f32_e32 v1, v2, v1
	v_fmac_f32_e32 v6, v2, v0
	v_fma_f32 v2, v0, v3, -v1
	v_cvt_f64_f32_e32 v[0:1], v6
	v_cvt_f64_f32_e32 v[2:3], v2
	v_mul_f64 v[0:1], v[0:1], s[0:1]
	v_mul_f64 v[2:3], v[2:3], s[0:1]
	v_cvt_f32_f64_e32 v0, v[0:1]
	v_cvt_f32_f64_e32 v1, v[2:3]
	global_store_dwordx2 v[4:5], v[0:1], off
.LBB0_15:
	s_endpgm
	.section	.rodata,"a",@progbits
	.p2align	6, 0x0
	.amdhsa_kernel bluestein_single_back_len1683_dim1_sp_op_CI_CI
		.amdhsa_group_segment_fixed_size 13464
		.amdhsa_private_segment_fixed_size 36
		.amdhsa_kernarg_size 104
		.amdhsa_user_sgpr_count 2
		.amdhsa_user_sgpr_dispatch_ptr 0
		.amdhsa_user_sgpr_queue_ptr 0
		.amdhsa_user_sgpr_kernarg_segment_ptr 1
		.amdhsa_user_sgpr_dispatch_id 0
		.amdhsa_user_sgpr_kernarg_preload_length 0
		.amdhsa_user_sgpr_kernarg_preload_offset 0
		.amdhsa_user_sgpr_private_segment_size 0
		.amdhsa_uses_dynamic_stack 0
		.amdhsa_enable_private_segment 1
		.amdhsa_system_sgpr_workgroup_id_x 1
		.amdhsa_system_sgpr_workgroup_id_y 0
		.amdhsa_system_sgpr_workgroup_id_z 0
		.amdhsa_system_sgpr_workgroup_info 0
		.amdhsa_system_vgpr_workitem_id 0
		.amdhsa_next_free_vgpr 512
		.amdhsa_next_free_sgpr 76
		.amdhsa_accum_offset 256
		.amdhsa_reserve_vcc 1
		.amdhsa_float_round_mode_32 0
		.amdhsa_float_round_mode_16_64 0
		.amdhsa_float_denorm_mode_32 3
		.amdhsa_float_denorm_mode_16_64 3
		.amdhsa_dx10_clamp 1
		.amdhsa_ieee_mode 1
		.amdhsa_fp16_overflow 0
		.amdhsa_tg_split 0
		.amdhsa_exception_fp_ieee_invalid_op 0
		.amdhsa_exception_fp_denorm_src 0
		.amdhsa_exception_fp_ieee_div_zero 0
		.amdhsa_exception_fp_ieee_overflow 0
		.amdhsa_exception_fp_ieee_underflow 0
		.amdhsa_exception_fp_ieee_inexact 0
		.amdhsa_exception_int_div_zero 0
	.end_amdhsa_kernel
	.text
.Lfunc_end0:
	.size	bluestein_single_back_len1683_dim1_sp_op_CI_CI, .Lfunc_end0-bluestein_single_back_len1683_dim1_sp_op_CI_CI
                                        ; -- End function
	.section	.AMDGPU.csdata,"",@progbits
; Kernel info:
; codeLenInByte = 51592
; NumSgprs: 82
; NumVgprs: 256
; NumAgprs: 256
; TotalNumVgprs: 512
; ScratchSize: 36
; MemoryBound: 0
; FloatMode: 240
; IeeeMode: 1
; LDSByteSize: 13464 bytes/workgroup (compile time only)
; SGPRBlocks: 10
; VGPRBlocks: 63
; NumSGPRsForWavesPerEU: 82
; NumVGPRsForWavesPerEU: 512
; AccumOffset: 256
; Occupancy: 1
; WaveLimiterHint : 1
; COMPUTE_PGM_RSRC2:SCRATCH_EN: 1
; COMPUTE_PGM_RSRC2:USER_SGPR: 2
; COMPUTE_PGM_RSRC2:TRAP_HANDLER: 0
; COMPUTE_PGM_RSRC2:TGID_X_EN: 1
; COMPUTE_PGM_RSRC2:TGID_Y_EN: 0
; COMPUTE_PGM_RSRC2:TGID_Z_EN: 0
; COMPUTE_PGM_RSRC2:TIDIG_COMP_CNT: 0
; COMPUTE_PGM_RSRC3_GFX90A:ACCUM_OFFSET: 63
; COMPUTE_PGM_RSRC3_GFX90A:TG_SPLIT: 0
	.text
	.p2alignl 6, 3212836864
	.fill 256, 4, 3212836864
	.type	__hip_cuid_4ea3be5210d927f7,@object ; @__hip_cuid_4ea3be5210d927f7
	.section	.bss,"aw",@nobits
	.globl	__hip_cuid_4ea3be5210d927f7
__hip_cuid_4ea3be5210d927f7:
	.byte	0                               ; 0x0
	.size	__hip_cuid_4ea3be5210d927f7, 1

	.ident	"AMD clang version 19.0.0git (https://github.com/RadeonOpenCompute/llvm-project roc-6.4.0 25133 c7fe45cf4b819c5991fe208aaa96edf142730f1d)"
	.section	".note.GNU-stack","",@progbits
	.addrsig
	.addrsig_sym __hip_cuid_4ea3be5210d927f7
	.amdgpu_metadata
---
amdhsa.kernels:
  - .agpr_count:     256
    .args:
      - .actual_access:  read_only
        .address_space:  global
        .offset:         0
        .size:           8
        .value_kind:     global_buffer
      - .actual_access:  read_only
        .address_space:  global
        .offset:         8
        .size:           8
        .value_kind:     global_buffer
      - .actual_access:  read_only
        .address_space:  global
        .offset:         16
        .size:           8
        .value_kind:     global_buffer
      - .actual_access:  read_only
        .address_space:  global
        .offset:         24
        .size:           8
        .value_kind:     global_buffer
      - .actual_access:  read_only
        .address_space:  global
        .offset:         32
        .size:           8
        .value_kind:     global_buffer
      - .offset:         40
        .size:           8
        .value_kind:     by_value
      - .address_space:  global
        .offset:         48
        .size:           8
        .value_kind:     global_buffer
      - .address_space:  global
        .offset:         56
        .size:           8
        .value_kind:     global_buffer
      - .address_space:  global
        .offset:         64
        .size:           8
        .value_kind:     global_buffer
      - .address_space:  global
        .offset:         72
        .size:           8
        .value_kind:     global_buffer
      - .offset:         80
        .size:           4
        .value_kind:     by_value
      - .address_space:  global
        .offset:         88
        .size:           8
        .value_kind:     global_buffer
      - .address_space:  global
        .offset:         96
        .size:           8
        .value_kind:     global_buffer
    .group_segment_fixed_size: 13464
    .kernarg_segment_align: 8
    .kernarg_segment_size: 104
    .language:       OpenCL C
    .language_version:
      - 2
      - 0
    .max_flat_workgroup_size: 51
    .name:           bluestein_single_back_len1683_dim1_sp_op_CI_CI
    .private_segment_fixed_size: 36
    .sgpr_count:     82
    .sgpr_spill_count: 0
    .symbol:         bluestein_single_back_len1683_dim1_sp_op_CI_CI.kd
    .uniform_work_group_size: 1
    .uses_dynamic_stack: false
    .vgpr_count:     512
    .vgpr_spill_count: 8
    .wavefront_size: 64
amdhsa.target:   amdgcn-amd-amdhsa--gfx950
amdhsa.version:
  - 1
  - 2
...

	.end_amdgpu_metadata
